;; amdgpu-corpus repo=ROCm/rocFFT kind=compiled arch=gfx906 opt=O3
	.text
	.amdgcn_target "amdgcn-amd-amdhsa--gfx906"
	.amdhsa_code_object_version 6
	.protected	bluestein_single_fwd_len1350_dim1_dp_op_CI_CI ; -- Begin function bluestein_single_fwd_len1350_dim1_dp_op_CI_CI
	.globl	bluestein_single_fwd_len1350_dim1_dp_op_CI_CI
	.p2align	8
	.type	bluestein_single_fwd_len1350_dim1_dp_op_CI_CI,@function
bluestein_single_fwd_len1350_dim1_dp_op_CI_CI: ; @bluestein_single_fwd_len1350_dim1_dp_op_CI_CI
; %bb.0:
	s_load_dwordx4 s[16:19], s[4:5], 0x28
	v_mul_u32_u24_e32 v1, 0x1e6, v0
	v_add_u32_sdwa v220, s6, v1 dst_sel:DWORD dst_unused:UNUSED_PAD src0_sel:DWORD src1_sel:WORD_1
	v_mov_b32_e32 v221, 0
	s_waitcnt lgkmcnt(0)
	v_cmp_gt_u64_e32 vcc, s[16:17], v[220:221]
	s_and_saveexec_b64 s[0:1], vcc
	s_cbranch_execz .LBB0_26
; %bb.1:
	s_load_dwordx4 s[0:3], s[4:5], 0x18
	s_load_dwordx4 s[12:15], s[4:5], 0x0
	s_movk_i32 s20, 0x87
	v_mul_lo_u16_sdwa v1, v1, s20 dst_sel:DWORD dst_unused:UNUSED_PAD src0_sel:WORD_1 src1_sel:DWORD
	v_sub_u16_e32 v222, v0, v1
	s_waitcnt lgkmcnt(0)
	s_load_dwordx4 s[8:11], s[0:1], 0x0
	v_lshlrev_b32_e32 v221, 4, v222
	s_movk_i32 s6, 0x1000
	s_mov_b32 s17, 0xbfe2cf23
	s_waitcnt lgkmcnt(0)
	v_mad_u64_u32 v[0:1], s[0:1], s10, v220, 0
	v_mad_u64_u32 v[2:3], s[0:1], s8, v222, 0
	;; [unrolled: 1-line block ×4, first 2 shown]
	v_mov_b32_e32 v1, v4
	v_lshlrev_b64 v[0:1], 4, v[0:1]
	v_mov_b32_e32 v6, s19
	v_mov_b32_e32 v3, v5
	v_add_co_u32_e32 v4, vcc, s18, v0
	v_addc_co_u32_e32 v5, vcc, v6, v1, vcc
	v_lshlrev_b64 v[0:1], 4, v[2:3]
	v_mov_b32_e32 v2, s13
	v_add_co_u32_e32 v0, vcc, v4, v0
	v_addc_co_u32_e32 v1, vcc, v5, v1, vcc
	v_add_co_u32_e32 v6, vcc, s12, v221
	s_mul_i32 s0, s9, 0x10e0
	s_mul_hi_u32 s1, s8, 0x10e0
	v_addc_co_u32_e32 v7, vcc, 0, v2, vcc
	s_add_i32 s0, s1, s0
	s_mul_i32 s1, s8, 0x10e0
	v_mov_b32_e32 v2, s0
	v_add_co_u32_e32 v4, vcc, s1, v0
	v_addc_co_u32_e32 v5, vcc, v1, v2, vcc
	v_add_co_u32_e32 v68, vcc, s6, v6
	v_addc_co_u32_e32 v69, vcc, 0, v7, vcc
	global_load_dwordx4 v[40:43], v[0:1], off
	global_load_dwordx4 v[44:47], v[4:5], off
	v_mov_b32_e32 v8, s0
	v_add_co_u32_e32 v4, vcc, s1, v4
	v_addc_co_u32_e32 v5, vcc, v5, v8, vcc
	s_movk_i32 s6, 0x2000
	v_add_co_u32_e32 v70, vcc, s6, v6
	v_addc_co_u32_e32 v71, vcc, 0, v7, vcc
	global_load_dwordx4 v[48:51], v[4:5], off
	v_add_co_u32_e32 v4, vcc, s1, v4
	v_addc_co_u32_e32 v5, vcc, v5, v8, vcc
	s_movk_i32 s6, 0x3000
	global_load_dwordx4 v[36:39], v221, s[12:13]
	global_load_dwordx4 v[0:3], v[68:69], off offset:224
	v_add_co_u32_e32 v72, vcc, s6, v6
	v_addc_co_u32_e32 v73, vcc, 0, v7, vcc
	global_load_dwordx4 v[52:55], v[4:5], off
	v_add_co_u32_e32 v4, vcc, s1, v4
	v_addc_co_u32_e32 v5, vcc, v5, v8, vcc
	s_movk_i32 s6, 0x4000
	v_add_co_u32_e32 v74, vcc, s6, v6
	v_mov_b32_e32 v6, 0xffffc4f0
	v_mad_u64_u32 v[8:9], s[6:7], s8, v6, v[4:5]
	s_mul_i32 s6, s9, 0xffffc4f0
	v_addc_co_u32_e32 v75, vcc, 0, v7, vcc
	s_sub_i32 s6, s6, s8
	global_load_dwordx4 v[56:59], v[4:5], off
	v_add_u32_e32 v9, s6, v9
	v_mov_b32_e32 v10, s0
	v_add_co_u32_e32 v76, vcc, s1, v8
	global_load_dwordx4 v[60:63], v[8:9], off
	global_load_dwordx4 v[4:7], v221, s[12:13] offset:2160
	v_addc_co_u32_e32 v77, vcc, v9, v10, vcc
	global_load_dwordx4 v[8:11], v[68:69], off offset:2384
	global_load_dwordx4 v[28:31], v[70:71], off offset:448
	global_load_dwordx4 v[64:67], v[76:77], off
	global_load_dwordx4 v[12:15], v[70:71], off offset:2608
	global_load_dwordx4 v[24:27], v[72:73], off offset:672
	;; [unrolled: 1-line block ×5, first 2 shown]
	v_mov_b32_e32 v68, s0
	v_add_co_u32_e32 v72, vcc, s1, v76
	v_addc_co_u32_e32 v73, vcc, v77, v68, vcc
	v_mov_b32_e32 v74, s0
	v_add_co_u32_e32 v76, vcc, s1, v72
	v_addc_co_u32_e32 v77, vcc, v73, v74, vcc
	global_load_dwordx4 v[68:71], v[72:73], off
	v_mov_b32_e32 v78, s0
	global_load_dwordx4 v[72:75], v[76:77], off
	v_add_co_u32_e32 v76, vcc, s1, v76
	v_addc_co_u32_e32 v77, vcc, v77, v78, vcc
	global_load_dwordx4 v[76:79], v[76:77], off
	s_load_dwordx4 s[8:11], s[2:3], 0x0
	s_mov_b32 s0, 0x134454ff
	s_mov_b32 s1, 0x3fee6f0e
	;; [unrolled: 1-line block ×9, first 2 shown]
	v_add_co_u32_e32 v198, vcc, s20, v222
	v_addc_co_u32_e64 v188, s[20:21], 0, 0, vcc
	s_movk_i32 s20, 0xcd
	s_waitcnt vmcnt(16)
	v_mul_f64 v[80:81], v[42:43], v[38:39]
	v_mul_f64 v[82:83], v[40:41], v[38:39]
	s_waitcnt vmcnt(15)
	v_mul_f64 v[84:85], v[46:47], v[2:3]
	v_mul_f64 v[86:87], v[44:45], v[2:3]
	v_fma_f64 v[40:41], v[40:41], v[36:37], v[80:81]
	v_fma_f64 v[42:43], v[42:43], v[36:37], -v[82:83]
	v_fma_f64 v[44:45], v[44:45], v[0:1], v[84:85]
	v_fma_f64 v[46:47], v[46:47], v[0:1], -v[86:87]
	ds_write_b128 v221, v[40:43]
	s_waitcnt vmcnt(9)
	v_mul_f64 v[80:81], v[50:51], v[30:31]
	v_mul_f64 v[82:83], v[48:49], v[30:31]
	s_waitcnt vmcnt(6)
	v_mul_f64 v[84:85], v[54:55], v[26:27]
	v_mul_f64 v[86:87], v[52:53], v[26:27]
	;; [unrolled: 3-line block ×3, first 2 shown]
	v_mul_f64 v[92:93], v[62:63], v[6:7]
	v_mul_f64 v[94:95], v[60:61], v[6:7]
	v_fma_f64 v[48:49], v[48:49], v[28:29], v[80:81]
	v_fma_f64 v[50:51], v[50:51], v[28:29], -v[82:83]
	v_mul_f64 v[80:81], v[66:67], v[10:11]
	v_mul_f64 v[82:83], v[64:65], v[10:11]
	v_fma_f64 v[52:53], v[52:53], v[24:25], v[84:85]
	v_fma_f64 v[54:55], v[54:55], v[24:25], -v[86:87]
	v_fma_f64 v[56:57], v[56:57], v[32:33], v[88:89]
	v_fma_f64 v[58:59], v[58:59], v[32:33], -v[90:91]
	s_waitcnt vmcnt(2)
	v_mul_f64 v[84:85], v[70:71], v[14:15]
	v_mul_f64 v[86:87], v[68:69], v[14:15]
	s_waitcnt vmcnt(1)
	v_mul_f64 v[88:89], v[74:75], v[18:19]
	v_mul_f64 v[90:91], v[72:73], v[18:19]
	v_fma_f64 v[60:61], v[60:61], v[4:5], v[92:93]
	v_fma_f64 v[62:63], v[62:63], v[4:5], -v[94:95]
	v_fma_f64 v[64:65], v[64:65], v[8:9], v[80:81]
	s_waitcnt vmcnt(0)
	v_mul_f64 v[92:93], v[78:79], v[22:23]
	v_mul_f64 v[94:95], v[76:77], v[22:23]
	v_fma_f64 v[66:67], v[66:67], v[8:9], -v[82:83]
	v_fma_f64 v[68:69], v[68:69], v[12:13], v[84:85]
	v_fma_f64 v[70:71], v[70:71], v[12:13], -v[86:87]
	v_fma_f64 v[72:73], v[72:73], v[16:17], v[88:89]
	;; [unrolled: 2-line block ×3, first 2 shown]
	v_fma_f64 v[78:79], v[78:79], v[20:21], -v[94:95]
	ds_write_b128 v221, v[44:47] offset:4320
	ds_write_b128 v221, v[48:51] offset:8640
	;; [unrolled: 1-line block ×9, first 2 shown]
	s_waitcnt lgkmcnt(0)
	s_barrier
	ds_read_b128 v[40:43], v221 offset:4320
	ds_read_b128 v[44:47], v221
	ds_read_b128 v[48:51], v221 offset:2160
	ds_read_b128 v[52:55], v221 offset:6480
	;; [unrolled: 1-line block ×4, first 2 shown]
	s_waitcnt lgkmcnt(4)
	v_add_f64 v[64:65], v[44:45], v[40:41]
	v_add_f64 v[66:67], v[46:47], v[42:43]
	s_waitcnt lgkmcnt(2)
	v_add_f64 v[84:85], v[48:49], v[52:53]
	v_add_f64 v[86:87], v[50:51], v[54:55]
	s_waitcnt lgkmcnt(1)
	v_add_f64 v[92:93], v[40:41], -v[56:57]
	v_add_f64 v[94:95], v[56:57], -v[40:41]
	;; [unrolled: 1-line block ×3, first 2 shown]
	s_waitcnt lgkmcnt(0)
	v_add_f64 v[110:111], v[60:61], -v[52:53]
	v_add_f64 v[72:73], v[64:65], v[56:57]
	v_add_f64 v[74:75], v[66:67], v[58:59]
	;; [unrolled: 1-line block ×4, first 2 shown]
	ds_read_b128 v[64:67], v221 offset:12960
	ds_read_b128 v[68:71], v221 offset:15120
	v_add_f64 v[116:117], v[54:55], -v[62:63]
	v_add_f64 v[118:119], v[62:63], -v[54:55]
	s_waitcnt lgkmcnt(1)
	v_add_f64 v[80:81], v[72:73], v[64:65]
	v_add_f64 v[82:83], v[74:75], v[66:67]
	;; [unrolled: 1-line block ×4, first 2 shown]
	s_waitcnt lgkmcnt(0)
	v_add_f64 v[84:85], v[84:85], v[68:69]
	v_add_f64 v[86:87], v[86:87], v[70:71]
	ds_read_b128 v[72:75], v221 offset:17280
	ds_read_b128 v[76:79], v221 offset:19440
	v_add_f64 v[90:91], v[58:59], -v[66:67]
	v_add_f64 v[56:57], v[56:57], -v[64:65]
	;; [unrolled: 1-line block ×3, first 2 shown]
	s_waitcnt lgkmcnt(1)
	v_add_f64 v[80:81], v[80:81], v[72:73]
	v_add_f64 v[82:83], v[82:83], v[74:75]
	v_add_f64 v[100:101], v[42:43], -v[74:75]
	v_add_f64 v[102:103], v[40:41], v[72:73]
	v_add_f64 v[104:105], v[40:41], -v[72:73]
	;; [unrolled: 2-line block ×3, first 2 shown]
	v_add_f64 v[64:65], v[64:65], -v[72:73]
	v_add_f64 v[72:73], v[74:75], -v[66:67]
	;; [unrolled: 1-line block ×3, first 2 shown]
	s_waitcnt lgkmcnt(0)
	v_add_f64 v[40:41], v[84:85], v[76:77]
	v_add_f64 v[42:43], v[86:87], v[78:79]
	;; [unrolled: 1-line block ×3, first 2 shown]
	v_add_f64 v[84:85], v[62:63], -v[70:71]
	v_add_f64 v[86:87], v[52:53], -v[60:61]
	v_add_f64 v[112:113], v[62:63], v[70:71]
	v_add_f64 v[114:115], v[60:61], -v[68:69]
	v_fma_f64 v[60:61], v[88:89], -0.5, v[44:45]
	v_fma_f64 v[62:63], v[96:97], -0.5, v[46:47]
	v_add_f64 v[120:121], v[54:55], -v[78:79]
	v_add_f64 v[122:123], v[52:53], v[76:77]
	v_add_f64 v[52:53], v[52:53], -v[76:77]
	v_add_f64 v[54:55], v[54:55], v[78:79]
	v_add_f64 v[88:89], v[76:77], -v[68:69]
	v_add_f64 v[76:77], v[68:69], -v[76:77]
	;; [unrolled: 1-line block ×4, first 2 shown]
	v_fma_f64 v[68:69], v[100:101], s[0:1], v[60:61]
	v_fma_f64 v[70:71], v[104:105], s[2:3], v[62:63]
	v_add_f64 v[92:93], v[92:93], v[108:109]
	v_add_f64 v[72:73], v[98:99], v[72:73]
	v_fma_f64 v[44:45], v[102:103], -0.5, v[44:45]
	v_fma_f64 v[46:47], v[106:107], -0.5, v[46:47]
	v_fma_f64 v[98:99], v[100:101], s[2:3], v[60:61]
	v_fma_f64 v[102:103], v[104:105], s[0:1], v[62:63]
	;; [unrolled: 1-line block ×4, first 2 shown]
	v_add_f64 v[94:95], v[94:95], v[64:65]
	v_add_f64 v[58:59], v[58:59], v[66:67]
	;; [unrolled: 1-line block ×4, first 2 shown]
	s_barrier
	v_fma_f64 v[60:61], v[92:93], s[18:19], v[68:69]
	v_fma_f64 v[62:63], v[72:73], s[18:19], v[70:71]
	;; [unrolled: 1-line block ×8, first 2 shown]
	v_fma_f64 v[98:99], v[74:75], -0.5, v[48:49]
	v_fma_f64 v[68:69], v[100:101], s[6:7], v[68:69]
	v_fma_f64 v[70:71], v[104:105], s[16:17], v[70:71]
	;; [unrolled: 1-line block ×5, first 2 shown]
	v_fma_f64 v[90:91], v[112:113], -0.5, v[50:51]
	v_fma_f64 v[50:51], v[54:55], -0.5, v[50:51]
	v_fma_f64 v[66:67], v[72:73], s[18:19], v[56:57]
	v_add_f64 v[54:55], v[86:87], v[88:89]
	v_fma_f64 v[70:71], v[58:59], s[18:19], v[70:71]
	v_fma_f64 v[72:73], v[94:95], s[18:19], v[44:45]
	;; [unrolled: 1-line block ×3, first 2 shown]
	v_fma_f64 v[46:47], v[122:123], -0.5, v[48:49]
	v_fma_f64 v[48:49], v[52:53], s[2:3], v[90:91]
	v_fma_f64 v[44:45], v[120:121], s[0:1], v[98:99]
	;; [unrolled: 1-line block ×4, first 2 shown]
	v_add_f64 v[56:57], v[116:117], v[96:97]
	v_fma_f64 v[68:69], v[94:95], s[18:19], v[68:69]
	v_fma_f64 v[88:89], v[84:85], s[2:3], v[46:47]
	;; [unrolled: 1-line block ×21, first 2 shown]
	v_mul_lo_u16_e32 v76, 5, v222
	v_lshlrev_b32_e32 v229, 4, v76
	ds_write_b128 v229, v[80:83]
	ds_write_b128 v229, v[60:63] offset:16
	ds_write_b128 v229, v[68:71] offset:32
	;; [unrolled: 1-line block ×4, first 2 shown]
	v_mul_u32_u24_e32 v60, 5, v198
	v_lshlrev_b32_e32 v232, 4, v60
	ds_write_b128 v232, v[40:43]
	ds_write_b128 v232, v[48:51] offset:16
	ds_write_b128 v232, v[52:55] offset:32
	;; [unrolled: 1-line block ×4, first 2 shown]
	v_mul_lo_u16_sdwa v40, v222, s20 dst_sel:DWORD dst_unused:UNUSED_PAD src0_sel:BYTE_0 src1_sel:DWORD
	v_lshrrev_b16_e32 v128, 10, v40
	v_mul_lo_u16_e32 v40, 5, v128
	v_sub_u16_e32 v40, v222, v40
	v_and_b32_e32 v129, 0xff, v40
	v_mov_b32_e32 v41, s15
	s_movk_i32 s20, 0x90
	v_mov_b32_e32 v40, s14
	v_mad_u64_u32 v[40:41], s[20:21], v129, s20, v[40:41]
	s_waitcnt lgkmcnt(0)
	s_barrier
	global_load_dwordx4 v[168:171], v[40:41], off
	global_load_dwordx4 v[164:167], v[40:41], off offset:16
	global_load_dwordx4 v[160:163], v[40:41], off offset:32
	;; [unrolled: 1-line block ×8, first 2 shown]
	ds_read_b128 v[40:43], v221 offset:2160
	ds_read_b128 v[44:47], v221
	ds_read_b128 v[48:51], v221 offset:4320
	ds_read_b128 v[52:55], v221 offset:6480
	s_mov_b32 s20, 0x9b97f4a8
	s_mov_b32 s21, 0x3fe9e377
	s_waitcnt vmcnt(8) lgkmcnt(3)
	v_mul_f64 v[56:57], v[42:43], v[170:171]
	v_mul_f64 v[60:61], v[40:41], v[170:171]
	s_waitcnt vmcnt(7) lgkmcnt(1)
	v_mul_f64 v[62:63], v[50:51], v[166:167]
	v_mul_f64 v[64:65], v[48:49], v[166:167]
	;; [unrolled: 3-line block ×3, first 2 shown]
	v_fma_f64 v[66:67], v[40:41], v[168:169], -v[56:57]
	ds_read_b128 v[56:59], v221 offset:8640
	v_fma_f64 v[72:73], v[42:43], v[168:169], v[60:61]
	ds_read_b128 v[40:43], v221 offset:10800
	v_fma_f64 v[74:75], v[48:49], v[164:165], -v[62:63]
	v_fma_f64 v[64:65], v[50:51], v[164:165], v[64:65]
	s_waitcnt vmcnt(5) lgkmcnt(1)
	v_mul_f64 v[60:61], v[58:59], v[158:159]
	v_mul_f64 v[62:63], v[56:57], v[158:159]
	ds_read_b128 v[48:51], v221 offset:12960
	v_fma_f64 v[68:69], v[52:53], v[160:161], -v[68:69]
	v_fma_f64 v[70:71], v[54:55], v[160:161], v[70:71]
	ds_read_b128 v[52:55], v221 offset:15120
	s_waitcnt vmcnt(4) lgkmcnt(2)
	v_mul_f64 v[78:79], v[40:41], v[154:155]
	s_waitcnt vmcnt(3) lgkmcnt(1)
	v_mul_f64 v[84:85], v[50:51], v[150:151]
	v_fma_f64 v[80:81], v[56:57], v[156:157], -v[60:61]
	v_fma_f64 v[82:83], v[58:59], v[156:157], v[62:63]
	ds_read_b128 v[56:59], v221 offset:17280
	ds_read_b128 v[60:63], v221 offset:19440
	v_mul_f64 v[86:87], v[48:49], v[150:151]
	s_waitcnt vmcnt(2) lgkmcnt(2)
	v_mul_f64 v[88:89], v[54:55], v[146:147]
	v_mul_f64 v[90:91], v[52:53], v[146:147]
	s_waitcnt vmcnt(1) lgkmcnt(1)
	v_mul_f64 v[92:93], v[58:59], v[142:143]
	v_mul_f64 v[94:95], v[56:57], v[142:143]
	v_fma_f64 v[48:49], v[48:49], v[148:149], -v[84:85]
	v_mul_f64 v[76:77], v[42:43], v[154:155]
	v_fma_f64 v[78:79], v[42:43], v[152:153], v[78:79]
	v_fma_f64 v[50:51], v[50:51], v[148:149], v[86:87]
	v_fma_f64 v[52:53], v[52:53], v[144:145], -v[88:89]
	v_fma_f64 v[54:55], v[54:55], v[144:145], v[90:91]
	v_fma_f64 v[56:57], v[56:57], v[140:141], -v[92:93]
	v_fma_f64 v[58:59], v[58:59], v[140:141], v[94:95]
	v_add_f64 v[42:43], v[46:47], v[64:65]
	s_waitcnt vmcnt(0) lgkmcnt(0)
	v_mul_f64 v[86:87], v[62:63], v[138:139]
	v_mul_f64 v[88:89], v[60:61], v[138:139]
	v_add_f64 v[90:91], v[80:81], v[48:49]
	v_add_f64 v[94:95], v[72:73], v[70:71]
	v_fma_f64 v[76:77], v[40:41], v[152:153], -v[76:77]
	v_add_f64 v[92:93], v[74:75], v[56:57]
	v_add_f64 v[40:41], v[44:45], v[74:75]
	;; [unrolled: 1-line block ×3, first 2 shown]
	v_fma_f64 v[60:61], v[60:61], v[136:137], -v[86:87]
	v_fma_f64 v[62:63], v[62:63], v[136:137], v[88:89]
	v_fma_f64 v[86:87], v[90:91], -0.5, v[44:45]
	v_add_f64 v[84:85], v[66:67], v[68:69]
	v_add_f64 v[90:91], v[78:79], v[54:55]
	v_fma_f64 v[88:89], v[92:93], -0.5, v[44:45]
	v_add_f64 v[44:45], v[94:95], v[78:79]
	v_add_f64 v[42:43], v[42:43], v[50:51]
	v_add_f64 v[94:95], v[76:77], v[52:53]
	v_add_f64 v[40:41], v[40:41], v[80:81]
	v_add_f64 v[92:93], v[82:83], v[50:51]
	v_add_f64 v[84:85], v[84:85], v[76:77]
	v_add_f64 v[96:97], v[64:65], v[58:59]
	v_fma_f64 v[90:91], v[90:91], -0.5, v[72:73]
	v_add_f64 v[44:45], v[44:45], v[54:55]
	v_add_f64 v[100:101], v[42:43], v[58:59]
	v_add_f64 v[102:103], v[68:69], -v[60:61]
	v_fma_f64 v[94:95], v[94:95], -0.5, v[66:67]
	v_add_f64 v[104:105], v[70:71], -v[62:63]
	v_add_f64 v[40:41], v[40:41], v[48:49]
	v_add_f64 v[84:85], v[84:85], v[52:53]
	v_add_f64 v[108:109], v[60:61], -v[52:53]
	v_add_f64 v[106:107], v[44:45], v[62:63]
	v_add_f64 v[44:45], v[68:69], -v[76:77]
	v_add_f64 v[110:111], v[70:71], -v[78:79]
	;; [unrolled: 1-line block ×3, first 2 shown]
	v_fma_f64 v[114:115], v[102:103], s[2:3], v[90:91]
	v_add_f64 v[116:117], v[76:77], -v[52:53]
	v_fma_f64 v[118:119], v[104:105], s[0:1], v[94:95]
	v_add_f64 v[120:121], v[78:79], -v[54:55]
	v_fma_f64 v[92:93], v[92:93], -0.5, v[46:47]
	v_fma_f64 v[96:97], v[96:97], -0.5, v[46:47]
	v_add_f64 v[42:43], v[100:101], v[106:107]
	v_add_f64 v[46:47], v[100:101], -v[106:107]
	v_add_f64 v[100:101], v[70:71], v[62:63]
	v_add_f64 v[106:107], v[68:69], v[60:61]
	;; [unrolled: 1-line block ×6, first 2 shown]
	v_fma_f64 v[112:113], v[116:117], s[16:17], v[114:115]
	v_fma_f64 v[114:115], v[120:121], s[6:7], v[118:119]
	v_fma_f64 v[72:73], v[100:101], -0.5, v[72:73]
	v_fma_f64 v[66:67], v[106:107], -0.5, v[66:67]
	v_add_f64 v[118:119], v[74:75], -v[80:81]
	v_add_f64 v[40:41], v[98:99], v[84:85]
	v_add_f64 v[122:123], v[56:57], -v[48:49]
	v_add_f64 v[124:125], v[64:65], -v[82:83]
	;; [unrolled: 1-line block ×4, first 2 shown]
	v_fma_f64 v[98:99], v[108:109], s[18:19], v[114:115]
	v_add_f64 v[100:101], v[64:65], -v[58:59]
	v_add_f64 v[106:107], v[74:75], -v[56:57]
	;; [unrolled: 1-line block ×6, first 2 shown]
	v_fma_f64 v[62:63], v[116:117], s[0:1], v[72:73]
	v_fma_f64 v[70:71], v[120:121], s[2:3], v[66:67]
	;; [unrolled: 1-line block ×3, first 2 shown]
	v_add_f64 v[112:113], v[118:119], v[122:123]
	v_add_f64 v[114:115], v[124:125], v[126:127]
	v_mul_f64 v[122:123], v[98:99], s[16:17]
	v_fma_f64 v[76:77], v[100:101], s[0:1], v[86:87]
	v_add_f64 v[78:79], v[82:83], -v[50:51]
	v_fma_f64 v[124:125], v[106:107], s[2:3], v[92:93]
	v_add_f64 v[126:127], v[80:81], -v[48:49]
	v_add_f64 v[68:69], v[68:69], v[52:53]
	v_add_f64 v[60:61], v[60:61], v[54:55]
	v_fma_f64 v[52:53], v[102:103], s[16:17], v[62:63]
	v_fma_f64 v[54:55], v[104:105], s[6:7], v[70:71]
	v_mul_f64 v[118:119], v[84:85], s[6:7]
	v_fma_f64 v[70:71], v[84:85], s[20:21], v[122:123]
	v_fma_f64 v[76:77], v[78:79], s[6:7], v[76:77]
	;; [unrolled: 1-line block ×3, first 2 shown]
	v_add_f64 v[74:75], v[80:81], -v[74:75]
	v_add_f64 v[48:49], v[48:49], -v[56:57]
	v_fma_f64 v[52:53], v[60:61], s[18:19], v[52:53]
	v_fma_f64 v[54:55], v[68:69], s[18:19], v[54:55]
	v_fma_f64 v[62:63], v[98:99], s[20:21], v[118:119]
	v_add_f64 v[56:57], v[82:83], -v[64:65]
	v_add_f64 v[50:51], v[50:51], -v[58:59]
	v_fma_f64 v[58:59], v[78:79], s[2:3], v[88:89]
	v_fma_f64 v[64:65], v[126:127], s[0:1], v[96:97]
	;; [unrolled: 1-line block ×4, first 2 shown]
	v_mul_f64 v[82:83], v[52:53], s[0:1]
	v_mul_f64 v[84:85], v[54:55], s[2:3]
	v_fma_f64 v[66:67], v[120:121], s[0:1], v[66:67]
	v_fma_f64 v[72:73], v[116:117], s[2:3], v[72:73]
	;; [unrolled: 1-line block ×4, first 2 shown]
	v_add_f64 v[74:75], v[74:75], v[48:49]
	v_add_f64 v[98:99], v[56:57], v[50:51]
	v_fma_f64 v[56:57], v[100:101], s[6:7], v[58:59]
	v_fma_f64 v[58:59], v[106:107], s[16:17], v[64:65]
	v_add_f64 v[48:49], v[76:77], v[62:63]
	v_add_f64 v[50:51], v[80:81], v[70:71]
	v_fma_f64 v[64:65], v[54:55], s[18:19], v[82:83]
	v_fma_f64 v[82:83], v[52:53], s[18:19], v[84:85]
	v_add_f64 v[52:53], v[76:77], -v[62:63]
	v_add_f64 v[54:55], v[80:81], -v[70:71]
	v_fma_f64 v[62:63], v[104:105], s[16:17], v[66:67]
	v_fma_f64 v[66:67], v[102:103], s[6:7], v[72:73]
	v_fma_f64 v[70:71], v[120:121], s[16:17], v[94:95]
	v_fma_f64 v[72:73], v[116:117], s[6:7], v[90:91]
	v_fma_f64 v[76:77], v[78:79], s[0:1], v[88:89]
	v_fma_f64 v[80:81], v[126:127], s[2:3], v[96:97]
	v_fma_f64 v[84:85], v[74:75], s[18:19], v[56:57]
	v_fma_f64 v[118:119], v[98:99], s[18:19], v[58:59]
	v_fma_f64 v[62:63], v[68:69], s[18:19], v[62:63]
	v_fma_f64 v[60:61], v[60:61], s[18:19], v[66:67]
	v_fma_f64 v[66:67], v[100:101], s[2:3], v[86:87]
	v_fma_f64 v[68:69], v[106:107], s[0:1], v[92:93]
	v_fma_f64 v[70:71], v[108:109], s[18:19], v[70:71]
	v_fma_f64 v[72:73], v[110:111], s[18:19], v[72:73]
	v_fma_f64 v[76:77], v[100:101], s[16:17], v[76:77]
	v_fma_f64 v[80:81], v[106:107], s[6:7], v[80:81]
	v_mul_f64 v[86:87], v[62:63], s[18:19]
	v_mul_f64 v[88:89], v[60:61], s[18:19]
	v_fma_f64 v[66:67], v[78:79], s[16:17], v[66:67]
	v_fma_f64 v[68:69], v[126:127], s[6:7], v[68:69]
	v_mul_f64 v[78:79], v[70:71], s[20:21]
	v_mul_f64 v[90:91], v[72:73], s[20:21]
	v_fma_f64 v[74:75], v[74:75], s[18:19], v[76:77]
	v_fma_f64 v[76:77], v[98:99], s[18:19], v[80:81]
	v_fma_f64 v[80:81], v[60:61], s[0:1], -v[86:87]
	v_fma_f64 v[86:87], v[62:63], s[2:3], -v[88:89]
	v_fma_f64 v[88:89], v[112:113], s[18:19], v[66:67]
	v_fma_f64 v[92:93], v[114:115], s[18:19], v[68:69]
	v_fma_f64 v[72:73], v[72:73], s[6:7], -v[78:79]
	v_fma_f64 v[90:91], v[70:71], s[16:17], -v[90:91]
	v_add_f64 v[56:57], v[84:85], v[64:65]
	v_add_f64 v[60:61], v[84:85], -v[64:65]
	v_add_f64 v[64:65], v[74:75], v[80:81]
	v_add_f64 v[66:67], v[76:77], v[86:87]
	v_add_f64 v[68:69], v[74:75], -v[80:81]
	v_add_f64 v[70:71], v[76:77], -v[86:87]
	v_add_f64 v[76:77], v[88:89], v[72:73]
	v_add_f64 v[72:73], v[88:89], -v[72:73]
	v_add_f64 v[74:75], v[92:93], -v[90:91]
	v_add_f64 v[58:59], v[118:119], v[82:83]
	v_add_f64 v[78:79], v[92:93], v[90:91]
	v_mul_u32_u24_e32 v80, 50, v128
	v_add_f64 v[62:63], v[118:119], -v[82:83]
	v_add_lshl_u32 v223, v80, v129, 4
	s_barrier
	ds_write_b128 v223, v[40:43]
	ds_write_b128 v223, v[48:51] offset:80
	ds_write_b128 v223, v[56:59] offset:160
	;; [unrolled: 1-line block ×9, first 2 shown]
	s_waitcnt lgkmcnt(0)
	s_barrier
	ds_read_b128 v[84:87], v221
	ds_read_b128 v[80:83], v221 offset:2160
	ds_read_b128 v[100:103], v221 offset:14400
	;; [unrolled: 1-line block ×8, first 2 shown]
	s_load_dwordx2 s[6:7], s[4:5], 0x38
	v_cmp_gt_u16_e64 s[0:1], 45, v222
                                        ; implicit-def: $vgpr112_vgpr113
                                        ; implicit-def: $vgpr116_vgpr117
	s_and_saveexec_b64 s[2:3], s[0:1]
	s_cbranch_execz .LBB0_3
; %bb.2:
	ds_read_b128 v[72:75], v221 offset:6480
	ds_read_b128 v[112:115], v221 offset:13680
	;; [unrolled: 1-line block ×3, first 2 shown]
.LBB0_3:
	s_or_b64 exec, exec, s[2:3]
	v_lshrrev_b16_e32 v48, 1, v198
	v_add_co_u32_e32 v196, vcc, 0x10e, v222
	v_mul_u32_u24_e32 v48, 0x147b, v48
	v_lshrrev_b32_e32 v193, 17, v48
	v_lshrrev_b16_e32 v189, 1, v196
	v_mov_b32_e32 v40, 41
	v_mul_lo_u16_e32 v48, 50, v193
	v_mul_u32_u24_e32 v56, 0x147b, v189
	v_mul_lo_u16_sdwa v40, v222, v40 dst_sel:DWORD dst_unused:UNUSED_PAD src0_sel:BYTE_0 src1_sel:DWORD
	v_sub_u16_e32 v194, v198, v48
	v_lshrrev_b32_e32 v195, 17, v56
	v_lshrrev_b16_e32 v191, 11, v40
	v_lshlrev_b16_e32 v48, 5, v194
	v_mul_lo_u16_e32 v56, 50, v195
	v_mul_lo_u16_e32 v40, 50, v191
	v_mov_b32_e32 v65, s15
	v_add_co_u32_e64 v52, s[4:5], s14, v48
	v_sub_u16_e32 v201, v196, v56
	v_sub_u16_e32 v40, v222, v40
	v_addc_co_u32_e64 v53, s[4:5], 0, v65, s[4:5]
	v_lshlrev_b16_e32 v56, 5, v201
	v_and_b32_e32 v192, 0xff, v40
	v_add_co_u32_e64 v60, s[4:5], s14, v56
	v_lshlrev_b32_e32 v44, 5, v192
	v_addc_co_u32_e64 v61, s[4:5], 0, v65, s[4:5]
	global_load_dwordx4 v[40:43], v44, s[14:15] offset:736
	s_nop 0
	global_load_dwordx4 v[44:47], v44, s[14:15] offset:720
	s_nop 0
	global_load_dwordx4 v[48:51], v[52:53], off offset:736
	s_nop 0
	global_load_dwordx4 v[52:55], v[52:53], off offset:720
	;; [unrolled: 2-line block ×4, first 2 shown]
	s_mov_b64 s[2:3], vcc
	v_add_co_u32_e32 v199, vcc, 0x195, v222
	v_lshrrev_b16_e32 v190, 1, v199
	v_mul_u32_u24_e32 v64, 0x147b, v190
	v_lshrrev_b32_e32 v64, 17, v64
	v_mul_lo_u16_e32 v64, 50, v64
	v_sub_u16_e32 v202, v199, v64
	v_lshlrev_b16_e32 v64, 5, v202
	v_add_co_u32_e64 v64, s[4:5], s14, v64
	v_addc_co_u32_e64 v65, s[4:5], 0, v65, s[4:5]
	global_load_dwordx4 v[68:71], v[64:65], off offset:720
	s_nop 0
	global_load_dwordx4 v[64:67], v[64:65], off offset:736
	s_mov_b32 s4, 0xe8584caa
	s_mov_b32 s5, 0x3febb67a
	;; [unrolled: 1-line block ×4, first 2 shown]
	v_addc_co_u32_e64 v197, s[2:3], 0, 0, s[2:3]
	v_addc_co_u32_e64 v200, s[2:3], 0, 0, vcc
	s_movk_i32 s2, 0x96
	v_lshlrev_b32_e32 v224, 4, v202
	s_waitcnt vmcnt(0) lgkmcnt(0)
	s_barrier
	v_mul_f64 v[124:125], v[102:103], v[42:43]
	v_mul_f64 v[120:121], v[110:111], v[46:47]
	;; [unrolled: 1-line block ×12, first 2 shown]
	v_fma_f64 v[108:109], v[108:109], v[44:45], -v[120:121]
	v_fma_f64 v[110:111], v[110:111], v[44:45], v[122:123]
	v_fma_f64 v[100:101], v[100:101], v[40:41], -v[124:125]
	v_fma_f64 v[102:103], v[102:103], v[40:41], v[126:127]
	v_fma_f64 v[106:107], v[106:107], v[52:53], v[130:131]
	;; [unrolled: 1-line block ×3, first 2 shown]
	v_fma_f64 v[122:123], v[96:97], v[60:61], -v[172:173]
	v_fma_f64 v[126:127], v[92:93], v[56:57], -v[176:177]
	v_mul_f64 v[180:181], v[114:115], v[70:71]
	v_mul_f64 v[182:183], v[112:113], v[70:71]
	;; [unrolled: 1-line block ×4, first 2 shown]
	v_fma_f64 v[104:105], v[104:105], v[52:53], -v[128:129]
	v_fma_f64 v[88:89], v[88:89], v[48:49], -v[132:133]
	v_fma_f64 v[124:125], v[98:99], v[60:61], v[174:175]
	v_fma_f64 v[128:129], v[94:95], v[56:57], v[178:179]
	v_add_f64 v[92:93], v[108:109], v[100:101]
	v_add_f64 v[96:97], v[86:87], v[110:111]
	;; [unrolled: 1-line block ×3, first 2 shown]
	v_add_f64 v[132:133], v[106:107], -v[120:121]
	v_add_f64 v[134:135], v[82:83], v[106:107]
	v_add_f64 v[106:107], v[106:107], v[120:121]
	;; [unrolled: 1-line block ×3, first 2 shown]
	v_fma_f64 v[130:131], v[112:113], v[68:69], -v[180:181]
	v_fma_f64 v[114:115], v[114:115], v[68:69], v[182:183]
	v_fma_f64 v[116:117], v[116:117], v[64:65], -v[184:185]
	v_fma_f64 v[118:119], v[118:119], v[64:65], v[186:187]
	v_add_f64 v[90:91], v[84:85], v[108:109]
	v_add_f64 v[94:95], v[110:111], -v[102:103]
	v_add_f64 v[108:109], v[108:109], -v[100:101]
	v_add_f64 v[110:111], v[80:81], v[104:105]
	v_add_f64 v[112:113], v[104:105], v[88:89]
	v_add_f64 v[104:105], v[104:105], -v[88:89]
	v_add_f64 v[176:177], v[124:125], -v[128:129]
	v_fma_f64 v[92:93], v[92:93], -0.5, v[84:85]
	v_fma_f64 v[98:99], v[98:99], -0.5, v[86:87]
	v_add_f64 v[86:87], v[96:97], v[102:103]
	v_fma_f64 v[102:103], v[106:107], -0.5, v[82:83]
	v_fma_f64 v[106:107], v[174:175], -0.5, v[76:77]
	v_add_f64 v[172:173], v[76:77], v[122:123]
	v_add_f64 v[84:85], v[90:91], v[100:101]
	v_fma_f64 v[100:101], v[112:113], -0.5, v[80:81]
	v_add_f64 v[80:81], v[110:111], v[88:89]
	v_fma_f64 v[88:89], v[94:95], s[4:5], v[92:93]
	v_fma_f64 v[92:93], v[94:95], s[16:17], v[92:93]
	;; [unrolled: 1-line block ×5, first 2 shown]
	v_add_f64 v[110:111], v[124:125], v[128:129]
	v_fma_f64 v[102:103], v[104:105], s[4:5], v[102:103]
	v_add_f64 v[104:105], v[130:131], v[116:117]
	v_fma_f64 v[108:109], v[176:177], s[4:5], v[106:107]
	v_fma_f64 v[112:113], v[176:177], s[16:17], v[106:107]
	v_add_f64 v[106:107], v[114:115], v[118:119]
	v_fma_f64 v[96:97], v[132:133], s[4:5], v[100:101]
	v_fma_f64 v[100:101], v[132:133], s[16:17], v[100:101]
	v_add_f64 v[82:83], v[134:135], v[120:121]
	v_add_f64 v[76:77], v[172:173], v[126:127]
	;; [unrolled: 1-line block ×3, first 2 shown]
	v_fma_f64 v[124:125], v[110:111], -0.5, v[78:79]
	v_add_f64 v[122:123], v[122:123], -v[126:127]
	v_add_f64 v[126:127], v[72:73], v[130:131]
	v_fma_f64 v[72:73], v[104:105], -0.5, v[72:73]
	v_add_f64 v[132:133], v[114:115], -v[118:119]
	v_add_f64 v[134:135], v[74:75], v[114:115]
	v_fma_f64 v[74:75], v[106:107], -0.5, v[74:75]
	v_add_f64 v[130:131], v[130:131], -v[116:117]
	v_add_f64 v[78:79], v[120:121], v[128:129]
	v_fma_f64 v[110:111], v[122:123], s[16:17], v[124:125]
	v_fma_f64 v[114:115], v[122:123], s[4:5], v[124:125]
	v_add_f64 v[104:105], v[126:127], v[116:117]
	v_fma_f64 v[120:121], v[132:133], s[4:5], v[72:73]
	v_fma_f64 v[124:125], v[132:133], s[16:17], v[72:73]
	v_add_f64 v[106:107], v[134:135], v[118:119]
	v_fma_f64 v[122:123], v[130:131], s[16:17], v[74:75]
	v_fma_f64 v[126:127], v[130:131], s[4:5], v[74:75]
	v_mul_u32_u24_e32 v72, 0x96, v191
	v_add_lshl_u32 v225, v72, v192, 4
	v_mad_legacy_u16 v72, v193, s2, v194
	v_lshlrev_b32_e32 v226, 4, v72
	v_mad_legacy_u16 v72, v195, s2, v201
	v_lshlrev_b32_e32 v227, 4, v72
	ds_write_b128 v225, v[84:87]
	ds_write_b128 v225, v[88:91] offset:800
	ds_write_b128 v225, v[92:95] offset:1600
	ds_write_b128 v226, v[80:83]
	ds_write_b128 v226, v[96:99] offset:800
	ds_write_b128 v226, v[100:103] offset:1600
	ds_write_b128 v227, v[76:79]
	ds_write_b128 v227, v[108:111] offset:800
	ds_write_b128 v227, v[112:115] offset:1600
	s_and_saveexec_b64 s[2:3], s[0:1]
	s_cbranch_execz .LBB0_5
; %bb.4:
	ds_write_b128 v224, v[104:107] offset:19200
	ds_write_b128 v224, v[120:123] offset:20000
	ds_write_b128 v224, v[124:127] offset:20800
.LBB0_5:
	s_or_b64 exec, exec, s[2:3]
	s_waitcnt lgkmcnt(0)
	s_barrier
	ds_read_b128 v[116:119], v221
	ds_read_b128 v[112:115], v221 offset:2160
	ds_read_b128 v[172:175], v221 offset:14400
	;; [unrolled: 1-line block ×8, first 2 shown]
	s_and_saveexec_b64 s[2:3], s[0:1]
	s_cbranch_execz .LBB0_7
; %bb.6:
	ds_read_b128 v[104:107], v221 offset:6480
	ds_read_b128 v[120:123], v221 offset:13680
	;; [unrolled: 1-line block ×3, first 2 shown]
.LBB0_7:
	s_or_b64 exec, exec, s[2:3]
	v_add_co_u32_e32 v80, vcc, -15, v222
	v_addc_co_u32_e64 v81, s[2:3], 0, -1, vcc
	v_cmp_gt_u16_e32 vcc, 15, v222
	v_cndmask_b32_e32 v204, v81, v188, vcc
	v_cndmask_b32_e32 v203, v80, v198, vcc
	v_lshlrev_b64 v[80:81], 5, v[203:204]
	v_mov_b32_e32 v192, s15
	v_add_co_u32_e32 v84, vcc, s14, v80
	v_lshlrev_b32_e32 v191, 5, v222
	v_addc_co_u32_e32 v85, vcc, v192, v81, vcc
	v_mul_u32_u24_e32 v88, 0xda75, v189
	global_load_dwordx4 v[72:75], v191, s[14:15] offset:2336
	global_load_dwordx4 v[76:79], v191, s[14:15] offset:2320
	global_load_dwordx4 v[80:83], v[84:85], off offset:2336
	s_nop 0
	global_load_dwordx4 v[84:87], v[84:85], off offset:2320
	v_lshrrev_b32_e32 v228, 22, v88
	v_mul_lo_u16_e32 v88, 0x96, v228
	v_mul_u32_u24_e32 v96, 0xda75, v190
	v_sub_u16_e32 v239, v196, v88
	v_lshrrev_b32_e32 v96, 22, v96
	v_lshlrev_b16_e32 v88, 5, v239
	v_mul_lo_u16_e32 v96, 0x96, v96
	v_add_co_u32_e32 v92, vcc, s14, v88
	v_sub_u16_e32 v240, v199, v96
	v_addc_co_u32_e32 v93, vcc, 0, v192, vcc
	v_lshlrev_b16_e32 v96, 5, v240
	v_add_co_u32_e32 v96, vcc, s14, v96
	v_addc_co_u32_e32 v97, vcc, 0, v192, vcc
	global_load_dwordx4 v[88:91], v[92:93], off offset:2336
	s_nop 0
	global_load_dwordx4 v[92:95], v[92:93], off offset:2320
	s_nop 0
	;; [unrolled: 2-line block ×3, first 2 shown]
	global_load_dwordx4 v[96:99], v[96:97], off offset:2336
	v_add_co_u32_e32 v201, vcc, s14, v191
	v_addc_co_u32_e32 v202, vcc, 0, v192, vcc
	s_mov_b32 s2, 0xe8584caa
	s_mov_b32 s3, 0x3febb67a
	s_mov_b32 s5, 0xbfebb67a
	s_mov_b32 s4, s2
	v_cmp_lt_u16_e32 vcc, 14, v222
	s_waitcnt vmcnt(0) lgkmcnt(0)
	s_barrier
	v_mul_f64 v[192:193], v[174:175], v[74:75]
	v_mul_f64 v[188:189], v[186:187], v[78:79]
	;; [unrolled: 1-line block ×8, first 2 shown]
	v_fma_f64 v[172:173], v[172:173], v[72:73], -v[192:193]
	v_fma_f64 v[184:185], v[184:185], v[76:77], -v[188:189]
	v_fma_f64 v[186:187], v[186:187], v[76:77], v[190:191]
	v_fma_f64 v[174:175], v[174:175], v[72:73], v[194:195]
	v_fma_f64 v[180:181], v[180:181], v[84:85], -v[204:205]
	v_fma_f64 v[182:183], v[182:183], v[84:85], v[206:207]
	v_fma_f64 v[128:129], v[128:129], v[80:81], -v[208:209]
	v_fma_f64 v[130:131], v[130:131], v[80:81], v[210:211]
	v_mul_f64 v[216:217], v[134:135], v[90:91]
	v_mul_f64 v[212:213], v[178:179], v[94:95]
	;; [unrolled: 1-line block ×8, first 2 shown]
	v_add_f64 v[208:209], v[182:183], -v[130:131]
	v_fma_f64 v[188:189], v[176:177], v[92:93], -v[212:213]
	v_fma_f64 v[176:177], v[178:179], v[92:93], v[214:215]
	v_fma_f64 v[178:179], v[132:133], v[88:89], -v[216:217]
	v_fma_f64 v[190:191], v[134:135], v[88:89], v[218:219]
	;; [unrolled: 2-line block ×4, first 2 shown]
	v_add_f64 v[120:121], v[116:117], v[184:185]
	v_add_f64 v[122:123], v[184:185], v[172:173]
	v_add_f64 v[126:127], v[186:187], -v[174:175]
	v_add_f64 v[124:125], v[118:119], v[186:187]
	v_add_f64 v[132:133], v[186:187], v[174:175]
	;; [unrolled: 1-line block ×5, first 2 shown]
	v_add_f64 v[134:135], v[184:185], -v[172:173]
	v_add_f64 v[184:185], v[112:113], v[180:181]
	v_add_f64 v[180:181], v[180:181], -v[128:129]
	v_add_f64 v[212:213], v[108:109], v[188:189]
	v_add_f64 v[230:231], v[176:177], v[190:191]
	;; [unrolled: 1-line block ×5, first 2 shown]
	v_fma_f64 v[172:173], v[122:123], -0.5, v[116:117]
	v_add_f64 v[122:123], v[124:125], v[174:175]
	v_fma_f64 v[132:133], v[132:133], -0.5, v[118:119]
	v_fma_f64 v[174:175], v[186:187], -0.5, v[112:113]
	;; [unrolled: 1-line block ×3, first 2 shown]
	v_add_f64 v[214:215], v[188:189], v[178:179]
	v_add_f64 v[218:219], v[110:111], v[176:177]
	;; [unrolled: 1-line block ×5, first 2 shown]
	v_fma_f64 v[124:125], v[126:127], s[2:3], v[172:173]
	v_fma_f64 v[128:129], v[126:127], s[4:5], v[172:173]
	;; [unrolled: 1-line block ×8, first 2 shown]
	v_fma_f64 v[180:181], v[230:231], -0.5, v[110:111]
	v_add_f64 v[178:179], v[188:189], -v[178:179]
	v_add_f64 v[182:183], v[104:105], v[192:193]
	v_fma_f64 v[104:105], v[233:234], -0.5, v[104:105]
	v_add_f64 v[184:185], v[194:195], -v[206:207]
	v_add_f64 v[186:187], v[106:107], v[194:195]
	v_fma_f64 v[106:107], v[235:236], -0.5, v[106:107]
	v_add_f64 v[194:195], v[192:193], -v[204:205]
	v_add_f64 v[216:217], v[176:177], -v[190:191]
	v_fma_f64 v[176:177], v[214:215], -0.5, v[108:109]
	v_add_f64 v[114:115], v[218:219], v[190:191]
	v_fma_f64 v[110:111], v[178:179], s[4:5], v[180:181]
	v_fma_f64 v[178:179], v[178:179], s[2:3], v[180:181]
	v_add_f64 v[180:181], v[182:183], v[204:205]
	v_fma_f64 v[188:189], v[184:185], s[2:3], v[104:105]
	v_fma_f64 v[192:193], v[184:185], s[4:5], v[104:105]
	;; [unrolled: 3-line block ×3, first 2 shown]
	v_fma_f64 v[108:109], v[216:217], s[2:3], v[176:177]
	v_fma_f64 v[176:177], v[216:217], s[4:5], v[176:177]
	v_mov_b32_e32 v104, 0x1c2
	s_movk_i32 s2, 0x1c2
	v_cndmask_b32_e32 v104, 0, v104, vcc
	v_add_lshl_u32 v230, v203, v104, 4
	v_mad_legacy_u16 v104, v228, s2, v239
	v_lshlrev_b32_e32 v231, 4, v104
	v_lshlrev_b32_e32 v228, 4, v240
	ds_write_b128 v221, v[120:123]
	ds_write_b128 v221, v[124:127] offset:2400
	ds_write_b128 v221, v[128:131] offset:4800
	ds_write_b128 v230, v[116:119]
	ds_write_b128 v230, v[132:135] offset:2400
	ds_write_b128 v230, v[172:175] offset:4800
	ds_write_b128 v231, v[112:115]
	ds_write_b128 v231, v[108:111] offset:2400
	ds_write_b128 v231, v[176:179] offset:4800
	s_and_saveexec_b64 s[2:3], s[0:1]
	s_cbranch_execz .LBB0_9
; %bb.8:
	ds_write_b128 v228, v[180:183] offset:14400
	ds_write_b128 v228, v[188:191] offset:16800
	;; [unrolled: 1-line block ×3, first 2 shown]
.LBB0_9:
	s_or_b64 exec, exec, s[2:3]
	s_waitcnt lgkmcnt(0)
	s_barrier
	ds_read_b128 v[184:187], v221
	ds_read_b128 v[176:179], v221 offset:2160
	ds_read_b128 v[120:123], v221 offset:14400
	ds_read_b128 v[128:131], v221 offset:16560
	ds_read_b128 v[124:127], v221 offset:7200
	ds_read_b128 v[172:175], v221 offset:4320
	ds_read_b128 v[132:135], v221 offset:9360
	ds_read_b128 v[116:119], v221 offset:11520
	ds_read_b128 v[112:115], v221 offset:18720
	s_and_saveexec_b64 s[2:3], s[0:1]
	s_cbranch_execz .LBB0_11
; %bb.10:
	ds_read_b128 v[180:183], v221 offset:6480
	ds_read_b128 v[188:191], v221 offset:13680
	;; [unrolled: 1-line block ×3, first 2 shown]
.LBB0_11:
	s_or_b64 exec, exec, s[2:3]
	s_movk_i32 s3, 0x1bd0
	v_add_co_u32_e32 v108, vcc, s3, v201
	v_addc_co_u32_e32 v109, vcc, 0, v202, vcc
	s_movk_i32 s2, 0x1000
	v_add_co_u32_e32 v104, vcc, s2, v201
	v_addc_co_u32_e32 v105, vcc, 0, v202, vcc
	global_load_dwordx4 v[104:107], v[104:105], off offset:3024
	s_nop 0
	global_load_dwordx4 v[108:111], v[108:109], off offset:16
	s_movk_i32 s4, 0xffd3
	s_waitcnt vmcnt(1) lgkmcnt(4)
	v_mul_f64 v[201:202], v[126:127], v[106:107]
	v_fma_f64 v[202:203], v[124:125], v[104:105], -v[201:202]
	v_mul_f64 v[124:125], v[124:125], v[106:107]
	v_fma_f64 v[204:205], v[126:127], v[104:105], v[124:125]
	s_waitcnt vmcnt(0)
	v_mul_f64 v[124:125], v[122:123], v[110:111]
	v_fma_f64 v[206:207], v[120:121], v[108:109], -v[124:125]
	v_mul_f64 v[120:121], v[120:121], v[110:111]
	v_fma_f64 v[208:209], v[122:123], v[108:109], v[120:121]
	v_lshlrev_b32_e32 v120, 5, v198
	v_add_co_u32_e32 v120, vcc, s14, v120
	v_mov_b32_e32 v198, s15
	v_addc_co_u32_e32 v121, vcc, 0, v198, vcc
	v_add_co_u32_e32 v124, vcc, s3, v120
	v_addc_co_u32_e32 v125, vcc, 0, v121, vcc
	v_add_co_u32_e32 v120, vcc, s2, v120
	v_addc_co_u32_e32 v121, vcc, 0, v121, vcc
	global_load_dwordx4 v[120:123], v[120:121], off offset:3024
	s_nop 0
	global_load_dwordx4 v[124:127], v[124:125], off offset:16
	s_waitcnt vmcnt(1) lgkmcnt(2)
	v_mul_f64 v[210:211], v[134:135], v[122:123]
	v_fma_f64 v[210:211], v[132:133], v[120:121], -v[210:211]
	v_mul_f64 v[132:133], v[132:133], v[122:123]
	v_fma_f64 v[214:215], v[134:135], v[120:121], v[132:133]
	s_waitcnt vmcnt(0)
	v_mul_f64 v[132:133], v[130:131], v[126:127]
	v_fma_f64 v[216:217], v[128:129], v[124:125], -v[132:133]
	v_mul_f64 v[128:129], v[128:129], v[126:127]
	v_fma_f64 v[218:219], v[130:131], v[124:125], v[128:129]
	v_lshlrev_b64 v[128:129], 5, v[196:197]
	v_add_co_u32_e32 v130, vcc, s14, v128
	v_addc_co_u32_e32 v131, vcc, v198, v129, vcc
	v_add_co_u32_e32 v128, vcc, s3, v130
	v_addc_co_u32_e32 v129, vcc, 0, v131, vcc
	;; [unrolled: 2-line block ×3, first 2 shown]
	global_load_dwordx4 v[132:135], v[130:131], off offset:3024
	s_nop 0
	global_load_dwordx4 v[128:131], v[128:129], off offset:16
	s_waitcnt vmcnt(1) lgkmcnt(1)
	v_mul_f64 v[196:197], v[118:119], v[134:135]
	v_fma_f64 v[235:236], v[116:117], v[132:133], -v[196:197]
	v_mul_f64 v[116:117], v[116:117], v[134:135]
	v_fma_f64 v[239:240], v[118:119], v[132:133], v[116:117]
	s_waitcnt vmcnt(0) lgkmcnt(0)
	v_mul_f64 v[116:117], v[114:115], v[130:131]
	v_fma_f64 v[241:242], v[112:113], v[128:129], -v[116:117]
	v_mul_f64 v[112:113], v[112:113], v[130:131]
	v_fma_f64 v[243:244], v[114:115], v[128:129], v[112:113]
	v_add_co_u32_e32 v112, vcc, s4, v222
	v_addc_co_u32_e64 v113, s[4:5], 0, -1, vcc
	v_cndmask_b32_e64 v113, v113, v200, s[0:1]
	v_cndmask_b32_e64 v112, v112, v199, s[0:1]
	v_lshlrev_b64 v[112:113], 5, v[112:113]
	v_add_f64 v[200:201], v[204:205], -v[208:209]
	v_add_co_u32_e32 v112, vcc, s14, v112
	v_addc_co_u32_e32 v113, vcc, v198, v113, vcc
	v_add_co_u32_e32 v116, vcc, s3, v112
	v_addc_co_u32_e32 v117, vcc, 0, v113, vcc
	v_add_co_u32_e32 v112, vcc, s2, v112
	v_addc_co_u32_e32 v113, vcc, 0, v113, vcc
	global_load_dwordx4 v[112:115], v[112:113], off offset:3024
	s_nop 0
	global_load_dwordx4 v[116:119], v[116:117], off offset:16
	s_mov_b32 s2, 0xe8584caa
	s_mov_b32 s3, 0x3febb67a
	;; [unrolled: 1-line block ×4, first 2 shown]
	s_waitcnt vmcnt(1)
	v_mul_f64 v[196:197], v[190:191], v[114:115]
	v_fma_f64 v[196:197], v[188:189], v[112:113], -v[196:197]
	v_mul_f64 v[188:189], v[188:189], v[114:115]
	v_fma_f64 v[198:199], v[190:191], v[112:113], v[188:189]
	s_waitcnt vmcnt(0)
	v_mul_f64 v[190:191], v[192:193], v[118:119]
	v_mul_f64 v[188:189], v[194:195], v[118:119]
	v_fma_f64 v[190:191], v[194:195], v[116:117], v[190:191]
	v_add_f64 v[194:195], v[202:203], v[206:207]
	v_fma_f64 v[188:189], v[192:193], v[116:117], -v[188:189]
	v_add_f64 v[192:193], v[184:185], v[202:203]
	v_add_f64 v[202:203], v[202:203], -v[206:207]
	v_fma_f64 v[194:195], v[194:195], -0.5, v[184:185]
	v_add_f64 v[192:193], v[192:193], v[206:207]
	v_add_f64 v[206:207], v[210:211], v[216:217]
	v_fma_f64 v[184:185], v[200:201], s[2:3], v[194:195]
	v_fma_f64 v[200:201], v[200:201], s[4:5], v[194:195]
	v_add_f64 v[194:195], v[186:187], v[204:205]
	v_add_f64 v[204:205], v[204:205], v[208:209]
	;; [unrolled: 1-line block ×3, first 2 shown]
	v_fma_f64 v[204:205], v[204:205], -0.5, v[186:187]
	v_fma_f64 v[186:187], v[202:203], s[4:5], v[204:205]
	v_fma_f64 v[202:203], v[202:203], s[2:3], v[204:205]
	v_add_f64 v[204:205], v[176:177], v[210:211]
	v_fma_f64 v[176:177], v[206:207], -0.5, v[176:177]
	v_add_f64 v[206:207], v[214:215], -v[218:219]
	v_add_f64 v[204:205], v[204:205], v[216:217]
	v_fma_f64 v[208:209], v[206:207], s[2:3], v[176:177]
	v_fma_f64 v[212:213], v[206:207], s[4:5], v[176:177]
	v_add_f64 v[176:177], v[178:179], v[214:215]
	v_add_f64 v[206:207], v[176:177], v[218:219]
	;; [unrolled: 1-line block ×3, first 2 shown]
	v_fma_f64 v[176:177], v[176:177], -0.5, v[178:179]
	v_add_f64 v[178:179], v[210:211], -v[216:217]
	v_fma_f64 v[210:211], v[178:179], s[4:5], v[176:177]
	v_fma_f64 v[214:215], v[178:179], s[2:3], v[176:177]
	v_add_f64 v[176:177], v[172:173], v[235:236]
	v_add_f64 v[216:217], v[176:177], v[241:242]
	;; [unrolled: 1-line block ×3, first 2 shown]
	v_fma_f64 v[172:173], v[176:177], -0.5, v[172:173]
	v_add_f64 v[176:177], v[239:240], -v[243:244]
	v_fma_f64 v[233:234], v[176:177], s[2:3], v[172:173]
	v_fma_f64 v[237:238], v[176:177], s[4:5], v[172:173]
	v_add_f64 v[172:173], v[174:175], v[239:240]
	v_add_f64 v[176:177], v[198:199], -v[190:191]
	v_add_f64 v[218:219], v[172:173], v[243:244]
	v_add_f64 v[172:173], v[239:240], v[243:244]
	v_fma_f64 v[172:173], v[172:173], -0.5, v[174:175]
	v_add_f64 v[174:175], v[235:236], -v[241:242]
	v_add_f64 v[241:242], v[196:197], -v[188:189]
	v_fma_f64 v[235:236], v[174:175], s[4:5], v[172:173]
	v_fma_f64 v[239:240], v[174:175], s[2:3], v[172:173]
	v_add_f64 v[172:173], v[196:197], v[188:189]
	ds_write_b128 v221, v[192:195]
	ds_write_b128 v221, v[184:187] offset:7200
	ds_write_b128 v221, v[200:203] offset:14400
	;; [unrolled: 1-line block ×8, first 2 shown]
	v_fma_f64 v[174:175], v[172:173], -0.5, v[180:181]
	v_fma_f64 v[172:173], v[176:177], s[2:3], v[174:175]
	v_fma_f64 v[176:177], v[176:177], s[4:5], v[174:175]
	v_add_f64 v[174:175], v[198:199], v[190:191]
	v_fma_f64 v[178:179], v[174:175], -0.5, v[182:183]
	v_fma_f64 v[174:175], v[241:242], s[4:5], v[178:179]
	v_fma_f64 v[178:179], v[241:242], s[2:3], v[178:179]
	s_and_saveexec_b64 s[2:3], s[0:1]
	s_cbranch_execz .LBB0_13
; %bb.12:
	v_add_f64 v[182:183], v[182:183], v[198:199]
	v_add_f64 v[180:181], v[180:181], v[196:197]
	;; [unrolled: 1-line block ×4, first 2 shown]
	ds_write_b128 v221, v[172:175] offset:13680
	ds_write_b128 v221, v[180:183] offset:6480
	ds_write_b128 v221, v[176:179] offset:20880
.LBB0_13:
	s_or_b64 exec, exec, s[2:3]
	v_lshlrev_b32_e32 v180, 4, v222
	v_add_co_u32_e32 v200, vcc, s12, v180
	v_mov_b32_e32 v180, s13
	v_addc_co_u32_e32 v201, vcc, 0, v180, vcc
	s_movk_i32 s2, 0x5460
	v_add_co_u32_e32 v192, vcc, s2, v200
	v_addc_co_u32_e32 v193, vcc, 0, v201, vcc
	s_movk_i32 s2, 0x5000
	v_add_co_u32_e32 v184, vcc, s2, v200
	v_addc_co_u32_e32 v185, vcc, 0, v201, vcc
	s_waitcnt lgkmcnt(0)
	s_barrier
	global_load_dwordx4 v[184:187], v[184:185], off offset:1120
	ds_read_b128 v[180:183], v221
	s_movk_i32 s2, 0x6000
	v_add_co_u32_e32 v194, vcc, s2, v200
	v_addc_co_u32_e32 v195, vcc, 0, v201, vcc
	s_movk_i32 s2, 0x7000
	v_add_co_u32_e32 v196, vcc, s2, v200
	v_addc_co_u32_e32 v197, vcc, 0, v201, vcc
	s_mov_b32 s2, 0x8000
	v_add_co_u32_e32 v198, vcc, s2, v200
	v_addc_co_u32_e32 v199, vcc, 0, v201, vcc
	s_mov_b32 s2, 0x9000
	s_mov_b32 s16, 0x134454ff
	;; [unrolled: 1-line block ×12, first 2 shown]
	s_waitcnt vmcnt(0) lgkmcnt(0)
	v_mul_f64 v[188:189], v[182:183], v[186:187]
	v_fma_f64 v[188:189], v[180:181], v[184:185], -v[188:189]
	v_mul_f64 v[180:181], v[180:181], v[186:187]
	v_fma_f64 v[190:191], v[182:183], v[184:185], v[180:181]
	global_load_dwordx4 v[184:187], v[194:195], off offset:1344
	ds_read_b128 v[180:183], v221 offset:4320
	ds_write_b128 v221, v[188:191]
	s_waitcnt vmcnt(0) lgkmcnt(1)
	v_mul_f64 v[188:189], v[182:183], v[186:187]
	v_fma_f64 v[188:189], v[180:181], v[184:185], -v[188:189]
	v_mul_f64 v[180:181], v[180:181], v[186:187]
	v_fma_f64 v[190:191], v[182:183], v[184:185], v[180:181]
	global_load_dwordx4 v[184:187], v[196:197], off offset:1568
	ds_read_b128 v[180:183], v221 offset:8640
	ds_write_b128 v221, v[188:191] offset:4320
	s_waitcnt vmcnt(0) lgkmcnt(1)
	v_mul_f64 v[188:189], v[182:183], v[186:187]
	v_fma_f64 v[188:189], v[180:181], v[184:185], -v[188:189]
	v_mul_f64 v[180:181], v[180:181], v[186:187]
	v_fma_f64 v[190:191], v[182:183], v[184:185], v[180:181]
	global_load_dwordx4 v[184:187], v[198:199], off offset:1792
	ds_read_b128 v[180:183], v221 offset:12960
	ds_write_b128 v221, v[188:191] offset:8640
	s_waitcnt vmcnt(0) lgkmcnt(1)
	v_mul_f64 v[188:189], v[182:183], v[186:187]
	v_fma_f64 v[188:189], v[180:181], v[184:185], -v[188:189]
	v_mul_f64 v[180:181], v[180:181], v[186:187]
	v_fma_f64 v[190:191], v[182:183], v[184:185], v[180:181]
	v_add_co_u32_e32 v184, vcc, s2, v200
	v_addc_co_u32_e32 v185, vcc, 0, v201, vcc
	global_load_dwordx4 v[184:187], v[184:185], off offset:2016
	ds_read_b128 v[180:183], v221 offset:17280
	s_mov_b32 s2, 0xa000
	ds_write_b128 v221, v[188:191] offset:12960
	s_waitcnt vmcnt(0) lgkmcnt(1)
	v_mul_f64 v[188:189], v[182:183], v[186:187]
	v_fma_f64 v[188:189], v[180:181], v[184:185], -v[188:189]
	v_mul_f64 v[180:181], v[180:181], v[186:187]
	v_fma_f64 v[190:191], v[182:183], v[184:185], v[180:181]
	global_load_dwordx4 v[184:187], v[192:193], off offset:2160
	ds_read_b128 v[180:183], v221 offset:2160
	ds_write_b128 v221, v[188:191] offset:17280
	s_waitcnt vmcnt(0) lgkmcnt(1)
	v_mul_f64 v[188:189], v[182:183], v[186:187]
	v_fma_f64 v[188:189], v[180:181], v[184:185], -v[188:189]
	v_mul_f64 v[180:181], v[180:181], v[186:187]
	v_fma_f64 v[190:191], v[182:183], v[184:185], v[180:181]
	global_load_dwordx4 v[184:187], v[194:195], off offset:3504
	ds_read_b128 v[180:183], v221 offset:6480
	;; [unrolled: 8-line block ×4, first 2 shown]
	ds_write_b128 v221, v[188:191] offset:10800
	s_waitcnt vmcnt(0) lgkmcnt(1)
	v_mul_f64 v[188:189], v[182:183], v[186:187]
	v_fma_f64 v[188:189], v[180:181], v[184:185], -v[188:189]
	v_mul_f64 v[180:181], v[180:181], v[186:187]
	v_fma_f64 v[190:191], v[182:183], v[184:185], v[180:181]
	v_add_co_u32_e32 v184, vcc, s2, v200
	v_addc_co_u32_e32 v185, vcc, 0, v201, vcc
	global_load_dwordx4 v[184:187], v[184:185], off offset:80
	ds_read_b128 v[180:183], v221 offset:19440
	s_mov_b32 s2, s14
	ds_write_b128 v221, v[188:191] offset:15120
	s_waitcnt vmcnt(0) lgkmcnt(1)
	v_mul_f64 v[188:189], v[182:183], v[186:187]
	v_fma_f64 v[188:189], v[180:181], v[184:185], -v[188:189]
	v_mul_f64 v[180:181], v[180:181], v[186:187]
	v_fma_f64 v[190:191], v[182:183], v[184:185], v[180:181]
	ds_write_b128 v221, v[188:191] offset:19440
	s_waitcnt lgkmcnt(0)
	s_barrier
	ds_read_b128 v[212:215], v221
	ds_read_b128 v[233:236], v221 offset:4320
	ds_read_b128 v[237:240], v221 offset:8640
	;; [unrolled: 1-line block ×9, first 2 shown]
	s_waitcnt lgkmcnt(6)
	v_add_f64 v[198:199], v[237:238], v[241:242]
	s_waitcnt lgkmcnt(5)
	v_add_f64 v[206:207], v[235:236], -v[247:248]
	v_add_f64 v[210:211], v[239:240], -v[243:244]
	;; [unrolled: 1-line block ×4, first 2 shown]
	v_add_f64 v[196:197], v[212:213], v[233:234]
	v_add_f64 v[218:219], v[241:242], -v[245:246]
	s_waitcnt lgkmcnt(0)
	v_fma_f64 v[198:199], v[198:199], -0.5, v[212:213]
	s_barrier
	v_add_f64 v[216:217], v[208:209], v[216:217]
	v_add_f64 v[196:197], v[196:197], v[237:238]
	v_fma_f64 v[204:205], v[206:207], s[16:17], v[198:199]
	v_fma_f64 v[198:199], v[206:207], s[4:5], v[198:199]
	v_add_f64 v[196:197], v[196:197], v[241:242]
	v_fma_f64 v[204:205], v[210:211], s[14:15], v[204:205]
	v_fma_f64 v[198:199], v[210:211], s[2:3], v[198:199]
	;; [unrolled: 3-line block ×3, first 2 shown]
	v_add_f64 v[198:199], v[233:234], v[245:246]
	v_add_f64 v[216:217], v[237:238], -v[233:234]
	v_add_f64 v[233:234], v[233:234], -v[245:246]
	;; [unrolled: 1-line block ×5, first 2 shown]
	v_fma_f64 v[198:199], v[198:199], -0.5, v[212:213]
	v_add_f64 v[218:219], v[216:217], v[218:219]
	v_fma_f64 v[212:213], v[210:211], s[4:5], v[198:199]
	v_fma_f64 v[198:199], v[210:211], s[16:17], v[198:199]
	;; [unrolled: 1-line block ×4, first 2 shown]
	v_add_f64 v[206:207], v[239:240], v[243:244]
	v_fma_f64 v[216:217], v[218:219], s[12:13], v[212:213]
	v_fma_f64 v[212:213], v[218:219], s[12:13], v[198:199]
	v_fma_f64 v[206:207], v[206:207], -0.5, v[214:215]
	v_add_f64 v[218:219], v[235:236], -v[239:240]
	v_add_f64 v[198:199], v[214:215], v[235:236]
	v_fma_f64 v[210:211], v[233:234], s[4:5], v[206:207]
	v_fma_f64 v[206:207], v[233:234], s[16:17], v[206:207]
	v_add_f64 v[218:219], v[218:219], v[241:242]
	v_add_f64 v[198:199], v[198:199], v[239:240]
	v_add_f64 v[241:242], v[180:181], -v[184:185]
	v_fma_f64 v[210:211], v[237:238], s[2:3], v[210:211]
	v_fma_f64 v[206:207], v[237:238], s[14:15], v[206:207]
	v_add_f64 v[198:199], v[198:199], v[243:244]
	v_add_f64 v[241:242], v[241:242], v[245:246]
	v_add_f64 v[245:246], v[184:185], -v[180:181]
	v_fma_f64 v[210:211], v[218:219], s[12:13], v[210:211]
	v_fma_f64 v[206:207], v[218:219], s[12:13], v[206:207]
	v_add_f64 v[218:219], v[235:236], v[247:248]
	v_add_f64 v[235:236], v[239:240], -v[235:236]
	v_add_f64 v[239:240], v[243:244], -v[247:248]
	;; [unrolled: 1-line block ×3, first 2 shown]
	v_add_f64 v[198:199], v[198:199], v[247:248]
	v_add_f64 v[247:248], v[188:189], -v[192:193]
	v_fma_f64 v[214:215], v[218:219], -0.5, v[214:215]
	v_add_f64 v[235:236], v[235:236], v[239:240]
	v_add_f64 v[239:240], v[182:183], -v[194:195]
	v_add_f64 v[245:246], v[245:246], v[247:248]
	v_fma_f64 v[218:219], v[237:238], s[16:17], v[214:215]
	v_fma_f64 v[214:215], v[237:238], s[4:5], v[214:215]
	;; [unrolled: 1-line block ×4, first 2 shown]
	v_add_f64 v[233:234], v[200:201], v[180:181]
	v_fma_f64 v[218:219], v[235:236], s[12:13], v[218:219]
	v_fma_f64 v[214:215], v[235:236], s[12:13], v[214:215]
	v_add_f64 v[235:236], v[184:185], v[188:189]
	v_add_f64 v[233:234], v[233:234], v[184:185]
	v_add_f64 v[184:185], v[184:185], -v[188:189]
	v_fma_f64 v[235:236], v[235:236], -0.5, v[200:201]
	v_add_f64 v[233:234], v[233:234], v[188:189]
	v_fma_f64 v[237:238], v[239:240], s[16:17], v[235:236]
	v_fma_f64 v[235:236], v[239:240], s[4:5], v[235:236]
	v_add_f64 v[233:234], v[233:234], v[192:193]
	v_fma_f64 v[237:238], v[243:244], s[14:15], v[237:238]
	v_fma_f64 v[235:236], v[243:244], s[2:3], v[235:236]
	;; [unrolled: 1-line block ×4, first 2 shown]
	v_add_f64 v[235:236], v[180:181], v[192:193]
	v_add_f64 v[180:181], v[180:181], -v[192:193]
	v_fma_f64 v[235:236], v[235:236], -0.5, v[200:201]
	v_fma_f64 v[200:201], v[243:244], s[4:5], v[235:236]
	v_fma_f64 v[235:236], v[243:244], s[16:17], v[235:236]
	;; [unrolled: 1-line block ×4, first 2 shown]
	v_add_f64 v[239:240], v[186:187], v[190:191]
	v_fma_f64 v[200:201], v[245:246], s[12:13], v[200:201]
	v_fma_f64 v[245:246], v[245:246], s[12:13], v[235:236]
	v_fma_f64 v[243:244], v[239:240], -0.5, v[202:203]
	v_add_f64 v[239:240], v[194:195], -v[190:191]
	v_add_f64 v[235:236], v[202:203], v[182:183]
	v_fma_f64 v[192:193], v[180:181], s[4:5], v[243:244]
	v_add_f64 v[235:236], v[235:236], v[186:187]
	v_fma_f64 v[188:189], v[184:185], s[2:3], v[192:193]
	v_add_f64 v[192:193], v[182:183], -v[186:187]
	v_add_f64 v[235:236], v[235:236], v[190:191]
	v_add_f64 v[192:193], v[192:193], v[239:240]
	;; [unrolled: 1-line block ×3, first 2 shown]
	v_fma_f64 v[239:240], v[192:193], s[12:13], v[188:189]
	v_fma_f64 v[188:189], v[180:181], s[16:17], v[243:244]
	;; [unrolled: 1-line block ×4, first 2 shown]
	v_add_f64 v[188:189], v[182:183], v[194:195]
	v_add_f64 v[182:183], v[186:187], -v[182:183]
	v_add_f64 v[186:187], v[190:191], -v[194:195]
	v_fma_f64 v[188:189], v[188:189], -0.5, v[202:203]
	v_add_f64 v[182:183], v[182:183], v[186:187]
	v_fma_f64 v[192:193], v[184:185], s[16:17], v[188:189]
	v_fma_f64 v[184:185], v[184:185], s[4:5], v[188:189]
	;; [unrolled: 1-line block ×6, first 2 shown]
	ds_write_b128 v229, v[196:199]
	ds_write_b128 v229, v[208:211] offset:16
	ds_write_b128 v229, v[216:219] offset:32
	;; [unrolled: 1-line block ×4, first 2 shown]
	ds_write_b128 v232, v[233:236]
	ds_write_b128 v232, v[237:240] offset:16
	ds_write_b128 v232, v[200:203] offset:32
	;; [unrolled: 1-line block ×4, first 2 shown]
	s_waitcnt lgkmcnt(0)
	s_barrier
	ds_read_b128 v[180:183], v221
	ds_read_b128 v[186:189], v221 offset:2160
	ds_read_b128 v[190:193], v221 offset:4320
	ds_read_b128 v[194:197], v221 offset:6480
	ds_read_b128 v[198:201], v221 offset:8640
	ds_read_b128 v[202:205], v221 offset:10800
	ds_read_b128 v[206:209], v221 offset:12960
	ds_read_b128 v[210:213], v221 offset:15120
	ds_read_b128 v[214:217], v221 offset:17280
	ds_read_b128 v[232:235], v221 offset:19440
	s_waitcnt lgkmcnt(8)
	v_mul_f64 v[184:185], v[170:171], v[188:189]
	v_mul_f64 v[170:171], v[170:171], v[186:187]
	s_waitcnt lgkmcnt(0)
	s_barrier
	v_fma_f64 v[184:185], v[168:169], v[186:187], v[184:185]
	v_fma_f64 v[168:169], v[168:169], v[188:189], -v[170:171]
	v_mul_f64 v[170:171], v[166:167], v[192:193]
	v_mul_f64 v[166:167], v[166:167], v[190:191]
	v_fma_f64 v[186:187], v[164:165], v[190:191], v[170:171]
	v_fma_f64 v[166:167], v[164:165], v[192:193], -v[166:167]
	v_mul_f64 v[164:165], v[162:163], v[196:197]
	v_mul_f64 v[162:163], v[162:163], v[194:195]
	;; [unrolled: 4-line block ×7, first 2 shown]
	v_add_f64 v[146:147], v[188:189], -v[190:191]
	v_fma_f64 v[158:159], v[140:141], v[214:215], v[144:145]
	v_fma_f64 v[192:193], v[140:141], v[216:217], -v[142:143]
	v_mul_f64 v[140:141], v[138:139], v[234:235]
	v_mul_f64 v[138:139], v[138:139], v[232:233]
	v_add_f64 v[144:145], v[186:187], -v[162:163]
	v_add_f64 v[196:197], v[158:159], -v[154:155]
	;; [unrolled: 1-line block ×3, first 2 shown]
	v_fma_f64 v[194:195], v[136:137], v[232:233], v[140:141]
	v_fma_f64 v[150:151], v[136:137], v[234:235], -v[138:139]
	v_add_f64 v[138:139], v[162:163], v[154:155]
	v_add_f64 v[136:137], v[180:181], v[186:187]
	v_add_f64 v[198:199], v[154:155], -v[158:159]
	v_add_f64 v[144:145], v[144:145], v[196:197]
	v_add_f64 v[196:197], v[162:163], -v[186:187]
	v_fma_f64 v[138:139], v[138:139], -0.5, v[180:181]
	v_add_f64 v[136:137], v[136:137], v[162:163]
	v_add_f64 v[196:197], v[196:197], v[198:199]
	v_add_f64 v[198:199], v[170:171], -v[194:195]
	v_fma_f64 v[140:141], v[142:143], s[16:17], v[138:139]
	v_fma_f64 v[138:139], v[142:143], s[4:5], v[138:139]
	v_add_f64 v[136:137], v[136:137], v[154:155]
	v_fma_f64 v[140:141], v[146:147], s[14:15], v[140:141]
	v_fma_f64 v[138:139], v[146:147], s[2:3], v[138:139]
	v_add_f64 v[136:137], v[136:137], v[158:159]
	v_fma_f64 v[140:141], v[144:145], s[12:13], v[140:141]
	v_fma_f64 v[138:139], v[144:145], s[12:13], v[138:139]
	v_add_f64 v[144:145], v[186:187], v[158:159]
	v_add_f64 v[186:187], v[186:187], -v[158:159]
	v_fma_f64 v[180:181], v[144:145], -0.5, v[180:181]
	v_fma_f64 v[144:145], v[146:147], s[4:5], v[180:181]
	v_fma_f64 v[146:147], v[146:147], s[16:17], v[180:181]
	v_add_f64 v[180:181], v[188:189], v[190:191]
	v_fma_f64 v[144:145], v[142:143], s[14:15], v[144:145]
	v_fma_f64 v[142:143], v[142:143], s[2:3], v[146:147]
	v_fma_f64 v[180:181], v[180:181], -0.5, v[182:183]
	v_fma_f64 v[144:145], v[196:197], s[12:13], v[144:145]
	v_fma_f64 v[146:147], v[196:197], s[12:13], v[142:143]
	v_fma_f64 v[158:159], v[186:187], s[4:5], v[180:181]
	v_add_f64 v[196:197], v[162:163], -v[154:155]
	v_add_f64 v[162:163], v[192:193], -v[190:191]
	v_add_f64 v[142:143], v[182:183], v[166:167]
	v_fma_f64 v[154:155], v[196:197], s[2:3], v[158:159]
	v_add_f64 v[158:159], v[166:167], -v[188:189]
	v_add_f64 v[142:143], v[142:143], v[188:189]
	v_add_f64 v[158:159], v[158:159], v[162:163]
	v_fma_f64 v[162:163], v[186:187], s[16:17], v[180:181]
	v_add_f64 v[142:143], v[142:143], v[190:191]
	v_fma_f64 v[154:155], v[158:159], s[12:13], v[154:155]
	v_fma_f64 v[162:163], v[196:197], s[14:15], v[162:163]
	v_add_f64 v[142:143], v[142:143], v[192:193]
	v_fma_f64 v[158:159], v[158:159], s[12:13], v[162:163]
	v_add_f64 v[162:163], v[166:167], v[192:193]
	v_add_f64 v[166:167], v[188:189], -v[166:167]
	v_fma_f64 v[180:181], v[162:163], -0.5, v[182:183]
	v_add_f64 v[182:183], v[190:191], -v[192:193]
	v_add_f64 v[190:191], v[152:153], -v[148:149]
	v_add_f64 v[192:193], v[164:165], -v[156:157]
	v_fma_f64 v[162:163], v[196:197], s[16:17], v[180:181]
	v_add_f64 v[166:167], v[166:167], v[182:183]
	v_fma_f64 v[180:181], v[196:197], s[4:5], v[180:181]
	v_add_f64 v[182:183], v[156:157], v[170:171]
	v_add_f64 v[196:197], v[194:195], -v[170:171]
	v_fma_f64 v[162:163], v[186:187], s[2:3], v[162:163]
	v_fma_f64 v[180:181], v[186:187], s[14:15], v[180:181]
	v_fma_f64 v[182:183], v[182:183], -0.5, v[184:185]
	v_add_f64 v[186:187], v[160:161], -v[150:151]
	v_add_f64 v[192:193], v[192:193], v[196:197]
	v_add_f64 v[196:197], v[156:157], -v[164:165]
	v_fma_f64 v[162:163], v[166:167], s[12:13], v[162:163]
	v_fma_f64 v[166:167], v[166:167], s[12:13], v[180:181]
	v_add_f64 v[180:181], v[184:185], v[164:165]
	v_fma_f64 v[188:189], v[186:187], s[16:17], v[182:183]
	v_fma_f64 v[182:183], v[186:187], s[4:5], v[182:183]
	v_add_f64 v[196:197], v[196:197], v[198:199]
	v_add_f64 v[180:181], v[180:181], v[156:157]
	v_fma_f64 v[188:189], v[190:191], s[14:15], v[188:189]
	v_fma_f64 v[182:183], v[190:191], s[2:3], v[182:183]
	v_add_f64 v[156:157], v[156:157], -v[170:171]
	v_add_f64 v[180:181], v[180:181], v[170:171]
	v_fma_f64 v[188:189], v[192:193], s[12:13], v[188:189]
	v_fma_f64 v[192:193], v[192:193], s[12:13], v[182:183]
	v_add_f64 v[182:183], v[164:165], v[194:195]
	v_add_f64 v[164:165], v[164:165], -v[194:195]
	v_add_f64 v[180:181], v[180:181], v[194:195]
	v_fma_f64 v[182:183], v[182:183], -0.5, v[184:185]
	v_fma_f64 v[184:185], v[190:191], s[4:5], v[182:183]
	v_fma_f64 v[182:183], v[190:191], s[16:17], v[182:183]
	v_add_f64 v[190:191], v[150:151], -v[148:149]
	v_fma_f64 v[184:185], v[186:187], s[14:15], v[184:185]
	v_fma_f64 v[182:183], v[186:187], s[2:3], v[182:183]
	;; [unrolled: 1-line block ×4, first 2 shown]
	v_add_f64 v[182:183], v[168:169], v[160:161]
	v_add_f64 v[182:183], v[182:183], v[152:153]
	;; [unrolled: 1-line block ×5, first 2 shown]
	v_add_f64 v[148:149], v[148:149], -v[150:151]
	v_fma_f64 v[182:183], v[182:183], -0.5, v[168:169]
	v_fma_f64 v[186:187], v[164:165], s[4:5], v[182:183]
	v_fma_f64 v[182:183], v[164:165], s[16:17], v[182:183]
	;; [unrolled: 1-line block ×3, first 2 shown]
	v_add_f64 v[186:187], v[160:161], -v[152:153]
	v_fma_f64 v[182:183], v[156:157], s[14:15], v[182:183]
	v_add_f64 v[152:153], v[152:153], -v[160:161]
	v_add_f64 v[186:187], v[186:187], v[190:191]
	v_add_f64 v[148:149], v[152:153], v[148:149]
	v_fma_f64 v[194:195], v[186:187], s[12:13], v[182:183]
	v_add_f64 v[182:183], v[160:161], v[150:151]
	v_fma_f64 v[170:171], v[186:187], s[12:13], v[170:171]
	v_fma_f64 v[168:169], v[182:183], -0.5, v[168:169]
	v_fma_f64 v[182:183], v[156:157], s[16:17], v[168:169]
	v_fma_f64 v[150:151], v[156:157], s[4:5], v[168:169]
	;; [unrolled: 1-line block ×6, first 2 shown]
	v_mul_f64 v[150:151], v[170:171], s[14:15]
	v_mul_f64 v[170:171], v[170:171], s[18:19]
	v_add_f64 v[148:149], v[136:137], v[180:181]
	v_fma_f64 v[160:161], v[188:189], s[18:19], v[150:151]
	v_mul_f64 v[150:151], v[152:153], s[16:17]
	v_mul_f64 v[152:153], v[152:153], s[12:13]
	v_fma_f64 v[204:205], v[188:189], s[2:3], v[170:171]
	v_add_f64 v[168:169], v[140:141], v[160:161]
	v_fma_f64 v[164:165], v[184:185], s[12:13], v[150:151]
	v_mul_f64 v[150:151], v[156:157], s[16:17]
	s_mov_b32 s17, 0xbfd3c6ef
	s_mov_b32 s16, s12
	v_fma_f64 v[206:207], v[184:185], s[4:5], v[152:153]
	v_mul_f64 v[152:153], v[156:157], s[16:17]
	v_add_f64 v[170:171], v[154:155], v[204:205]
	v_add_f64 v[140:141], v[140:141], -v[160:161]
	v_add_f64 v[182:183], v[144:145], v[164:165]
	v_fma_f64 v[200:201], v[196:197], s[16:17], v[150:151]
	v_mul_f64 v[150:151], v[194:195], s[14:15]
	s_mov_b32 s15, 0xbfe9e377
	s_mov_b32 s14, s18
	v_fma_f64 v[156:157], v[196:197], s[4:5], v[152:153]
	v_mul_f64 v[152:153], v[194:195], s[14:15]
	v_add_f64 v[184:185], v[162:163], v[206:207]
	v_add_f64 v[194:195], v[136:137], -v[180:181]
	v_add_f64 v[186:187], v[146:147], v[200:201]
	v_fma_f64 v[202:203], v[192:193], s[14:15], v[150:151]
	v_add_f64 v[150:151], v[142:143], v[198:199]
	v_add_f64 v[196:197], v[142:143], -v[198:199]
	v_add_f64 v[188:189], v[166:167], v[156:157]
	v_fma_f64 v[208:209], v[192:193], s[2:3], v[152:153]
	v_add_f64 v[142:143], v[154:155], -v[204:205]
	v_add_f64 v[144:145], v[144:145], -v[164:165]
	;; [unrolled: 1-line block ×3, first 2 shown]
	v_add_f64 v[190:191], v[138:139], v[202:203]
	v_add_f64 v[146:147], v[162:163], -v[206:207]
	v_add_f64 v[154:155], v[166:167], -v[156:157]
	;; [unrolled: 1-line block ×3, first 2 shown]
	v_add_f64 v[192:193], v[158:159], v[208:209]
	v_add_f64 v[138:139], v[158:159], -v[208:209]
	ds_write_b128 v223, v[148:151]
	ds_write_b128 v223, v[168:171] offset:80
	ds_write_b128 v223, v[182:185] offset:160
	;; [unrolled: 1-line block ×9, first 2 shown]
	s_waitcnt lgkmcnt(0)
	s_barrier
	ds_read_b128 v[148:151], v221
	ds_read_b128 v[168:171], v221 offset:7200
	ds_read_b128 v[156:159], v221 offset:14400
	;; [unrolled: 1-line block ×8, first 2 shown]
	s_and_saveexec_b64 s[2:3], s[0:1]
	s_cbranch_execz .LBB0_15
; %bb.14:
	ds_read_b128 v[136:139], v221 offset:6480
	ds_read_b128 v[172:175], v221 offset:13680
	;; [unrolled: 1-line block ×3, first 2 shown]
.LBB0_15:
	s_or_b64 exec, exec, s[2:3]
	s_waitcnt lgkmcnt(7)
	v_mul_f64 v[184:185], v[46:47], v[170:171]
	v_mul_f64 v[46:47], v[46:47], v[168:169]
	s_waitcnt lgkmcnt(6)
	v_mul_f64 v[186:187], v[42:43], v[158:159]
	v_mul_f64 v[42:43], v[42:43], v[156:157]
	;; [unrolled: 3-line block ×3, first 2 shown]
	s_waitcnt lgkmcnt(3)
	v_mul_f64 v[190:191], v[50:51], v[166:167]
	s_mov_b32 s2, 0xe8584caa
	v_fma_f64 v[168:169], v[44:45], v[168:169], v[184:185]
	v_fma_f64 v[46:47], v[44:45], v[170:171], -v[46:47]
	v_fma_f64 v[156:157], v[40:41], v[156:157], v[186:187]
	v_mul_f64 v[44:45], v[50:51], v[164:165]
	s_waitcnt lgkmcnt(1)
	v_mul_f64 v[50:51], v[62:63], v[182:183]
	v_fma_f64 v[40:41], v[40:41], v[158:159], -v[42:43]
	v_mul_f64 v[42:43], v[62:63], v[180:181]
	v_fma_f64 v[158:159], v[52:53], v[160:161], v[188:189]
	v_fma_f64 v[160:161], v[52:53], v[162:163], -v[54:55]
	v_fma_f64 v[162:163], v[48:49], v[164:165], v[190:191]
	s_waitcnt lgkmcnt(0)
	v_mul_f64 v[52:53], v[58:59], v[154:155]
	v_fma_f64 v[48:49], v[48:49], v[166:167], -v[44:45]
	v_fma_f64 v[50:51], v[60:61], v[180:181], v[50:51]
	v_mul_f64 v[44:45], v[58:59], v[152:153]
	v_fma_f64 v[42:43], v[60:61], v[182:183], -v[42:43]
	v_mul_f64 v[54:55], v[70:71], v[174:175]
	v_add_f64 v[60:61], v[168:169], v[156:157]
	v_mul_f64 v[62:63], v[66:67], v[176:177]
	v_fma_f64 v[164:165], v[56:57], v[152:153], v[52:53]
	v_mul_f64 v[52:53], v[66:67], v[178:179]
	v_mul_f64 v[58:59], v[70:71], v[172:173]
	v_fma_f64 v[56:57], v[56:57], v[154:155], -v[44:45]
	v_add_f64 v[66:67], v[168:169], -v[156:157]
	v_fma_f64 v[154:155], v[68:69], v[172:173], v[54:55]
	v_fma_f64 v[54:55], v[60:61], -0.5, v[148:149]
	v_add_f64 v[60:61], v[46:47], -v[40:41]
	v_fma_f64 v[170:171], v[64:65], v[178:179], -v[62:63]
	v_add_f64 v[62:63], v[46:47], v[40:41]
	v_add_f64 v[46:47], v[150:151], v[46:47]
	v_fma_f64 v[166:167], v[64:65], v[176:177], v[52:53]
	v_add_f64 v[64:65], v[158:159], v[162:163]
	s_mov_b32 s3, 0xbfebb67a
	s_mov_b32 s5, 0x3febb67a
	s_mov_b32 s4, s2
	v_add_f64 v[44:45], v[148:149], v[168:169]
	v_fma_f64 v[62:63], v[62:63], -0.5, v[150:151]
	v_add_f64 v[46:47], v[46:47], v[40:41]
	v_add_f64 v[40:41], v[160:161], v[48:49]
	v_fma_f64 v[58:59], v[68:69], v[174:175], -v[58:59]
	v_fma_f64 v[52:53], v[60:61], s[2:3], v[54:55]
	v_fma_f64 v[60:61], v[60:61], s[4:5], v[54:55]
	v_add_f64 v[68:69], v[144:145], v[158:159]
	v_fma_f64 v[70:71], v[64:65], -0.5, v[144:145]
	v_add_f64 v[144:145], v[160:161], -v[48:49]
	v_fma_f64 v[54:55], v[66:67], s[4:5], v[62:63]
	v_add_f64 v[148:149], v[50:51], v[164:165]
	v_fma_f64 v[62:63], v[66:67], s[2:3], v[62:63]
	v_add_f64 v[66:67], v[146:147], v[160:161]
	v_fma_f64 v[40:41], v[40:41], -0.5, v[146:147]
	v_add_f64 v[146:147], v[158:159], -v[162:163]
	v_add_f64 v[150:151], v[140:141], v[50:51]
	v_add_f64 v[44:45], v[44:45], v[156:157]
	;; [unrolled: 1-line block ×3, first 2 shown]
	v_fma_f64 v[68:69], v[144:145], s[2:3], v[70:71]
	v_fma_f64 v[152:153], v[148:149], -0.5, v[140:141]
	v_add_f64 v[156:157], v[42:43], -v[56:57]
	v_fma_f64 v[144:145], v[144:145], s[4:5], v[70:71]
	v_add_f64 v[66:67], v[66:67], v[48:49]
	v_fma_f64 v[70:71], v[146:147], s[4:5], v[40:41]
	v_add_f64 v[48:49], v[42:43], v[56:57]
	;; [unrolled: 2-line block ×3, first 2 shown]
	v_add_f64 v[40:41], v[154:155], v[166:167]
	v_add_f64 v[150:151], v[58:59], v[170:171]
	v_fma_f64 v[148:149], v[156:157], s[2:3], v[152:153]
	v_fma_f64 v[152:153], v[156:157], s[4:5], v[152:153]
	v_add_f64 v[42:43], v[142:143], v[42:43]
	v_fma_f64 v[48:49], v[48:49], -0.5, v[142:143]
	v_add_f64 v[50:51], v[50:51], -v[164:165]
	v_add_f64 v[156:157], v[136:137], v[154:155]
	v_fma_f64 v[136:137], v[40:41], -0.5, v[136:137]
	v_add_f64 v[158:159], v[58:59], -v[170:171]
	;; [unrolled: 3-line block ×3, first 2 shown]
	v_add_f64 v[142:143], v[42:43], v[56:57]
	v_fma_f64 v[150:151], v[50:51], s[4:5], v[48:49]
	v_fma_f64 v[154:155], v[50:51], s[2:3], v[48:49]
	v_add_f64 v[40:41], v[156:157], v[166:167]
	v_fma_f64 v[48:49], v[158:159], s[2:3], v[136:137]
	v_fma_f64 v[56:57], v[158:159], s[4:5], v[136:137]
	;; [unrolled: 3-line block ×3, first 2 shown]
	s_barrier
	ds_write_b128 v225, v[44:47]
	ds_write_b128 v225, v[52:55] offset:800
	ds_write_b128 v225, v[60:63] offset:1600
	ds_write_b128 v226, v[64:67]
	ds_write_b128 v226, v[68:71] offset:800
	ds_write_b128 v226, v[144:147] offset:1600
	;; [unrolled: 3-line block ×3, first 2 shown]
	s_and_saveexec_b64 s[2:3], s[0:1]
	s_cbranch_execz .LBB0_17
; %bb.16:
	ds_write_b128 v224, v[40:43] offset:19200
	ds_write_b128 v224, v[48:51] offset:20000
	;; [unrolled: 1-line block ×3, first 2 shown]
.LBB0_17:
	s_or_b64 exec, exec, s[2:3]
	s_waitcnt lgkmcnt(0)
	s_barrier
	ds_read_b128 v[60:63], v221
	ds_read_b128 v[52:55], v221 offset:2160
	ds_read_b128 v[140:143], v221 offset:14400
	ds_read_b128 v[68:71], v221 offset:16560
	ds_read_b128 v[148:151], v221 offset:7200
	ds_read_b128 v[44:47], v221 offset:4320
	ds_read_b128 v[144:147], v221 offset:9360
	ds_read_b128 v[136:139], v221 offset:11520
	ds_read_b128 v[64:67], v221 offset:18720
	s_and_saveexec_b64 s[2:3], s[0:1]
	s_cbranch_execz .LBB0_19
; %bb.18:
	ds_read_b128 v[40:43], v221 offset:6480
	ds_read_b128 v[48:51], v221 offset:13680
	;; [unrolled: 1-line block ×3, first 2 shown]
.LBB0_19:
	s_or_b64 exec, exec, s[2:3]
	s_waitcnt lgkmcnt(4)
	v_mul_f64 v[152:153], v[78:79], v[150:151]
	v_mul_f64 v[78:79], v[78:79], v[148:149]
	;; [unrolled: 1-line block ×4, first 2 shown]
	s_waitcnt lgkmcnt(2)
	v_mul_f64 v[156:157], v[86:87], v[146:147]
	v_mul_f64 v[86:87], v[86:87], v[144:145]
	;; [unrolled: 1-line block ×4, first 2 shown]
	v_fma_f64 v[148:149], v[76:77], v[148:149], v[152:153]
	v_fma_f64 v[76:77], v[76:77], v[150:151], -v[78:79]
	v_fma_f64 v[78:79], v[72:73], v[140:141], v[154:155]
	s_waitcnt lgkmcnt(1)
	v_mul_f64 v[140:141], v[94:95], v[138:139]
	v_fma_f64 v[72:73], v[72:73], v[142:143], -v[74:75]
	v_mul_f64 v[74:75], v[94:95], v[136:137]
	v_fma_f64 v[94:95], v[84:85], v[144:145], v[156:157]
	v_fma_f64 v[84:85], v[84:85], v[146:147], -v[86:87]
	v_fma_f64 v[68:69], v[80:81], v[68:69], v[158:159]
	s_waitcnt lgkmcnt(0)
	v_mul_f64 v[86:87], v[90:91], v[66:67]
	v_fma_f64 v[70:71], v[80:81], v[70:71], -v[82:83]
	v_mul_f64 v[80:81], v[90:91], v[64:65]
	v_fma_f64 v[82:83], v[92:93], v[136:137], v[140:141]
	v_fma_f64 v[90:91], v[92:93], v[138:139], -v[74:75]
	v_mul_f64 v[92:93], v[102:103], v[48:49]
	v_mul_f64 v[74:75], v[102:103], v[50:51]
	v_add_f64 v[102:103], v[148:149], v[78:79]
	v_fma_f64 v[86:87], v[88:89], v[64:65], v[86:87]
	v_mul_f64 v[64:65], v[98:99], v[58:59]
	v_mul_f64 v[98:99], v[98:99], v[56:57]
	v_fma_f64 v[88:89], v[88:89], v[66:67], -v[80:81]
	v_add_f64 v[66:67], v[60:61], v[148:149]
	v_fma_f64 v[50:51], v[100:101], v[50:51], -v[92:93]
	v_fma_f64 v[48:49], v[100:101], v[48:49], v[74:75]
	v_fma_f64 v[74:75], v[102:103], -0.5, v[60:61]
	v_add_f64 v[80:81], v[76:77], -v[72:73]
	v_fma_f64 v[92:93], v[96:97], v[56:57], v[64:65]
	v_fma_f64 v[96:97], v[96:97], v[58:59], -v[98:99]
	v_add_f64 v[58:59], v[76:77], v[72:73]
	v_add_f64 v[56:57], v[66:67], v[78:79]
	;; [unrolled: 1-line block ×4, first 2 shown]
	v_add_f64 v[78:79], v[148:149], -v[78:79]
	v_add_f64 v[100:101], v[82:83], v[86:87]
	s_mov_b32 s2, 0xe8584caa
	s_mov_b32 s3, 0xbfebb67a
	v_fma_f64 v[98:99], v[58:59], -0.5, v[62:63]
	s_mov_b32 s4, s2
	v_add_f64 v[58:59], v[66:67], v[72:73]
	v_add_f64 v[72:73], v[84:85], v[70:71]
	v_fma_f64 v[60:61], v[80:81], s[2:3], v[74:75]
	v_fma_f64 v[64:65], v[80:81], s[4:5], v[74:75]
	v_add_f64 v[74:75], v[52:53], v[94:95]
	v_fma_f64 v[76:77], v[76:77], -0.5, v[52:53]
	v_add_f64 v[80:81], v[84:85], -v[70:71]
	v_fma_f64 v[62:63], v[78:79], s[4:5], v[98:99]
	v_fma_f64 v[66:67], v[78:79], s[2:3], v[98:99]
	v_add_f64 v[78:79], v[54:55], v[84:85]
	v_fma_f64 v[84:85], v[72:73], -0.5, v[54:55]
	v_add_f64 v[94:95], v[94:95], -v[68:69]
	v_add_f64 v[98:99], v[44:45], v[82:83]
	v_fma_f64 v[44:45], v[100:101], -0.5, v[44:45]
	v_add_f64 v[100:101], v[90:91], -v[88:89]
	v_add_f64 v[52:53], v[74:75], v[68:69]
	v_fma_f64 v[68:69], v[80:81], s[2:3], v[76:77]
	v_fma_f64 v[72:73], v[80:81], s[4:5], v[76:77]
	v_add_f64 v[54:55], v[78:79], v[70:71]
	v_fma_f64 v[70:71], v[94:95], s[4:5], v[84:85]
	v_add_f64 v[78:79], v[90:91], v[88:89]
	;; [unrolled: 2-line block ×3, first 2 shown]
	v_fma_f64 v[80:81], v[100:101], s[2:3], v[44:45]
	v_fma_f64 v[84:85], v[100:101], s[4:5], v[44:45]
	v_add_f64 v[44:45], v[50:51], v[96:97]
	v_add_f64 v[76:77], v[98:99], v[86:87]
	;; [unrolled: 1-line block ×3, first 2 shown]
	v_fma_f64 v[46:47], v[78:79], -0.5, v[46:47]
	v_add_f64 v[86:87], v[82:83], -v[86:87]
	v_add_f64 v[98:99], v[40:41], v[48:49]
	v_fma_f64 v[94:95], v[94:95], -0.5, v[40:41]
	v_add_f64 v[100:101], v[50:51], -v[96:97]
	v_add_f64 v[50:51], v[42:43], v[50:51]
	;; [unrolled: 3-line block ×3, first 2 shown]
	v_fma_f64 v[82:83], v[86:87], s[4:5], v[46:47]
	v_fma_f64 v[86:87], v[86:87], s[2:3], v[46:47]
	v_add_f64 v[40:41], v[98:99], v[92:93]
	v_fma_f64 v[44:45], v[100:101], s[2:3], v[94:95]
	v_fma_f64 v[48:49], v[100:101], s[4:5], v[94:95]
	v_add_f64 v[42:43], v[50:51], v[96:97]
	v_fma_f64 v[46:47], v[136:137], s[4:5], v[102:103]
	v_fma_f64 v[50:51], v[136:137], s[2:3], v[102:103]
	s_barrier
	ds_write_b128 v221, v[56:59]
	ds_write_b128 v221, v[60:63] offset:2400
	ds_write_b128 v221, v[64:67] offset:4800
	ds_write_b128 v230, v[52:55]
	ds_write_b128 v230, v[68:71] offset:2400
	ds_write_b128 v230, v[72:75] offset:4800
	;; [unrolled: 3-line block ×3, first 2 shown]
	s_and_saveexec_b64 s[2:3], s[0:1]
	s_cbranch_execz .LBB0_21
; %bb.20:
	ds_write_b128 v228, v[40:43] offset:14400
	ds_write_b128 v228, v[44:47] offset:16800
	;; [unrolled: 1-line block ×3, first 2 shown]
.LBB0_21:
	s_or_b64 exec, exec, s[2:3]
	s_waitcnt lgkmcnt(0)
	s_barrier
	ds_read_b128 v[60:63], v221
	ds_read_b128 v[56:59], v221 offset:2160
	ds_read_b128 v[80:83], v221 offset:14400
	;; [unrolled: 1-line block ×8, first 2 shown]
	s_and_saveexec_b64 s[2:3], s[0:1]
	s_cbranch_execz .LBB0_23
; %bb.22:
	ds_read_b128 v[40:43], v221 offset:6480
	ds_read_b128 v[44:47], v221 offset:13680
	;; [unrolled: 1-line block ×3, first 2 shown]
.LBB0_23:
	s_or_b64 exec, exec, s[2:3]
	s_waitcnt lgkmcnt(4)
	v_mul_f64 v[88:89], v[106:107], v[86:87]
	v_mul_f64 v[90:91], v[110:111], v[82:83]
	;; [unrolled: 1-line block ×4, first 2 shown]
	s_waitcnt lgkmcnt(2)
	v_mul_f64 v[96:97], v[122:123], v[78:79]
	v_mul_f64 v[100:101], v[126:127], v[70:71]
	;; [unrolled: 1-line block ×3, first 2 shown]
	s_waitcnt lgkmcnt(0)
	v_mul_f64 v[110:111], v[130:131], v[64:65]
	v_fma_f64 v[84:85], v[104:105], v[84:85], v[88:89]
	v_fma_f64 v[80:81], v[108:109], v[80:81], v[90:91]
	v_fma_f64 v[86:87], v[104:105], v[86:87], -v[92:93]
	v_fma_f64 v[82:83], v[108:109], v[82:83], -v[94:95]
	v_mul_f64 v[88:89], v[126:127], v[68:69]
	v_mul_f64 v[90:91], v[134:135], v[74:75]
	v_fma_f64 v[94:95], v[120:121], v[76:77], v[96:97]
	v_fma_f64 v[96:97], v[124:125], v[68:69], v[100:101]
	v_mul_f64 v[102:103], v[134:135], v[72:73]
	v_mul_f64 v[106:107], v[130:131], v[66:67]
	v_add_f64 v[92:93], v[84:85], v[80:81]
	v_add_f64 v[68:69], v[60:61], v[84:85]
	;; [unrolled: 1-line block ×3, first 2 shown]
	v_fma_f64 v[78:79], v[120:121], v[78:79], -v[98:99]
	v_fma_f64 v[88:89], v[124:125], v[70:71], -v[88:89]
	v_fma_f64 v[90:91], v[132:133], v[72:73], v[90:91]
	v_add_f64 v[72:73], v[86:87], -v[82:83]
	v_add_f64 v[86:87], v[62:63], v[86:87]
	v_fma_f64 v[98:99], v[128:129], v[66:67], -v[110:111]
	v_add_f64 v[66:67], v[94:95], v[96:97]
	v_fma_f64 v[74:75], v[132:133], v[74:75], -v[102:103]
	v_fma_f64 v[70:71], v[92:93], -0.5, v[60:61]
	v_fma_f64 v[92:93], v[128:129], v[64:65], v[106:107]
	v_add_f64 v[60:61], v[68:69], v[80:81]
	v_fma_f64 v[76:77], v[76:77], -0.5, v[62:63]
	v_add_f64 v[80:81], v[84:85], -v[80:81]
	v_add_f64 v[84:85], v[56:57], v[94:95]
	v_add_f64 v[62:63], v[86:87], v[82:83]
	;; [unrolled: 1-line block ×3, first 2 shown]
	s_mov_b32 s2, 0xe8584caa
	s_mov_b32 s3, 0xbfebb67a
	;; [unrolled: 1-line block ×3, first 2 shown]
	v_fma_f64 v[100:101], v[66:67], -0.5, v[56:57]
	v_add_f64 v[102:103], v[78:79], -v[88:89]
	v_fma_f64 v[64:65], v[72:73], s[2:3], v[70:71]
	v_fma_f64 v[68:69], v[72:73], s[4:5], v[70:71]
	;; [unrolled: 1-line block ×4, first 2 shown]
	v_add_f64 v[56:57], v[84:85], v[96:97]
	v_add_f64 v[80:81], v[90:91], v[92:93]
	v_add_f64 v[84:85], v[74:75], v[98:99]
	v_add_f64 v[78:79], v[58:59], v[78:79]
	v_fma_f64 v[82:83], v[82:83], -0.5, v[58:59]
	v_add_f64 v[86:87], v[94:95], -v[96:97]
	v_fma_f64 v[72:73], v[102:103], s[2:3], v[100:101]
	v_fma_f64 v[76:77], v[102:103], s[4:5], v[100:101]
	v_add_f64 v[94:95], v[52:53], v[90:91]
	v_add_f64 v[102:103], v[54:55], v[74:75]
	v_fma_f64 v[96:97], v[80:81], -0.5, v[52:53]
	v_add_f64 v[100:101], v[74:75], -v[98:99]
	v_fma_f64 v[104:105], v[84:85], -0.5, v[54:55]
	v_add_f64 v[90:91], v[90:91], -v[92:93]
	v_add_f64 v[58:59], v[78:79], v[88:89]
	v_fma_f64 v[74:75], v[86:87], s[4:5], v[82:83]
	v_fma_f64 v[78:79], v[86:87], s[2:3], v[82:83]
	v_add_f64 v[52:53], v[94:95], v[92:93]
	v_add_f64 v[54:55], v[102:103], v[98:99]
	v_fma_f64 v[80:81], v[100:101], s[2:3], v[96:97]
	v_fma_f64 v[84:85], v[100:101], s[4:5], v[96:97]
	;; [unrolled: 1-line block ×4, first 2 shown]
	ds_write_b128 v221, v[60:63]
	ds_write_b128 v221, v[64:67] offset:7200
	ds_write_b128 v221, v[68:71] offset:14400
	;; [unrolled: 1-line block ×8, first 2 shown]
	s_and_saveexec_b64 s[12:13], s[0:1]
	s_cbranch_execz .LBB0_25
; %bb.24:
	v_mul_f64 v[52:53], v[114:115], v[44:45]
	v_mul_f64 v[54:55], v[118:119], v[48:49]
	;; [unrolled: 1-line block ×4, first 2 shown]
	v_fma_f64 v[46:47], v[112:113], v[46:47], -v[52:53]
	v_fma_f64 v[50:51], v[116:117], v[50:51], -v[54:55]
	v_fma_f64 v[44:45], v[112:113], v[44:45], v[56:57]
	v_fma_f64 v[48:49], v[116:117], v[48:49], v[58:59]
	v_add_f64 v[58:59], v[42:43], v[46:47]
	v_add_f64 v[52:53], v[46:47], v[50:51]
	v_add_f64 v[60:61], v[46:47], -v[50:51]
	v_add_f64 v[54:55], v[44:45], v[48:49]
	v_add_f64 v[56:57], v[44:45], -v[48:49]
	v_add_f64 v[44:45], v[40:41], v[44:45]
	v_fma_f64 v[52:53], v[52:53], -0.5, v[42:43]
	v_add_f64 v[42:43], v[58:59], v[50:51]
	v_fma_f64 v[54:55], v[54:55], -0.5, v[40:41]
	v_add_f64 v[40:41], v[44:45], v[48:49]
	v_fma_f64 v[50:51], v[56:57], s[4:5], v[52:53]
	v_fma_f64 v[46:47], v[56:57], s[2:3], v[52:53]
	;; [unrolled: 1-line block ×4, first 2 shown]
	ds_write_b128 v221, v[40:43] offset:6480
	ds_write_b128 v221, v[48:51] offset:13680
	;; [unrolled: 1-line block ×3, first 2 shown]
.LBB0_25:
	s_or_b64 exec, exec, s[12:13]
	s_waitcnt lgkmcnt(0)
	s_barrier
	ds_read_b128 v[40:43], v221
	ds_read_b128 v[44:47], v221 offset:2160
	v_mad_u64_u32 v[48:49], s[0:1], s10, v220, 0
	v_mov_b32_e32 v58, s7
	s_waitcnt lgkmcnt(1)
	v_mul_f64 v[50:51], v[38:39], v[42:43]
	v_mul_f64 v[38:39], v[38:39], v[40:41]
	s_mul_i32 s5, s8, 0x10e0
	v_mad_u64_u32 v[52:53], s[0:1], s11, v220, v[49:50]
	v_fma_f64 v[40:41], v[36:37], v[40:41], v[50:51]
	v_fma_f64 v[38:39], v[36:37], v[42:43], -v[38:39]
	v_mov_b32_e32 v49, v52
	v_mad_u64_u32 v[52:53], s[0:1], s8, v222, 0
	s_mov_b32 s0, 0xa0ce5129
	s_mov_b32 s1, 0x3f4845c8
	v_mov_b32_e32 v36, v53
	v_mad_u64_u32 v[50:51], s[2:3], s9, v222, v[36:37]
	v_mul_f64 v[36:37], v[40:41], s[0:1]
	ds_read_b128 v[40:43], v221 offset:4320
	v_mov_b32_e32 v53, v50
	v_lshlrev_b64 v[54:55], 4, v[48:49]
	ds_read_b128 v[48:51], v221 offset:6480
	v_mul_f64 v[38:39], v[38:39], s[0:1]
	s_waitcnt lgkmcnt(1)
	v_mul_f64 v[56:57], v[2:3], v[42:43]
	v_mul_f64 v[2:3], v[2:3], v[40:41]
	v_add_co_u32_e32 v54, vcc, s6, v54
	v_lshlrev_b64 v[52:53], 4, v[52:53]
	v_addc_co_u32_e32 v55, vcc, v58, v55, vcc
	s_mul_i32 s2, s9, 0x10e0
	v_fma_f64 v[40:41], v[0:1], v[40:41], v[56:57]
	v_fma_f64 v[42:43], v[0:1], v[42:43], -v[2:3]
	ds_read_b128 v[0:3], v221 offset:8640
	v_add_co_u32_e32 v56, vcc, v54, v52
	v_addc_co_u32_e32 v57, vcc, v55, v53, vcc
	global_store_dwordx4 v[56:57], v[36:39], off
	ds_read_b128 v[52:55], v221 offset:12960
	v_mul_f64 v[36:37], v[40:41], s[0:1]
	v_mul_f64 v[38:39], v[42:43], s[0:1]
	ds_read_b128 v[40:43], v221 offset:10800
	s_waitcnt lgkmcnt(2)
	v_mul_f64 v[58:59], v[30:31], v[2:3]
	v_mul_f64 v[30:31], v[30:31], v[0:1]
	s_mul_hi_u32 s3, s8, 0x10e0
	s_add_i32 s4, s3, s2
	v_mov_b32_e32 v62, s4
	v_add_co_u32_e32 v56, vcc, s5, v56
	v_addc_co_u32_e32 v57, vcc, v57, v62, vcc
	v_fma_f64 v[58:59], v[28:29], v[0:1], v[58:59]
	v_fma_f64 v[28:29], v[28:29], v[2:3], -v[30:31]
	ds_read_b128 v[0:3], v221 offset:15120
	s_waitcnt lgkmcnt(2)
	v_mul_f64 v[30:31], v[26:27], v[54:55]
	v_mul_f64 v[60:61], v[26:27], v[52:53]
	global_store_dwordx4 v[56:57], v[36:39], off
	ds_read_b128 v[36:39], v221 offset:17280
	v_add_co_u32_e32 v56, vcc, s5, v56
	v_mul_f64 v[26:27], v[58:59], s[0:1]
	v_mul_f64 v[28:29], v[28:29], s[0:1]
	v_fma_f64 v[30:31], v[24:25], v[52:53], v[30:31]
	v_fma_f64 v[58:59], v[24:25], v[54:55], -v[60:61]
	ds_read_b128 v[52:55], v221 offset:19440
	s_waitcnt lgkmcnt(1)
	v_mul_f64 v[60:61], v[34:35], v[38:39]
	v_mul_f64 v[34:35], v[34:35], v[36:37]
	v_addc_co_u32_e32 v57, vcc, v57, v62, vcc
	global_store_dwordx4 v[56:57], v[26:29], off
	v_mul_f64 v[24:25], v[30:31], s[0:1]
	v_mul_f64 v[26:27], v[58:59], s[0:1]
	v_mov_b32_e32 v58, s4
	v_fma_f64 v[28:29], v[32:33], v[36:37], v[60:61]
	v_fma_f64 v[30:31], v[32:33], v[38:39], -v[34:35]
	v_mul_f64 v[32:33], v[6:7], v[46:47]
	v_mul_f64 v[6:7], v[6:7], v[44:45]
	v_add_co_u32_e32 v34, vcc, s5, v56
	v_addc_co_u32_e32 v35, vcc, v57, v58, vcc
	global_store_dwordx4 v[34:35], v[24:27], off
	v_fma_f64 v[6:7], v[4:5], v[46:47], -v[6:7]
	v_mul_f64 v[24:25], v[28:29], s[0:1]
	v_mul_f64 v[26:27], v[30:31], s[0:1]
	v_fma_f64 v[28:29], v[4:5], v[44:45], v[32:33]
	v_mul_f64 v[32:33], v[10:11], v[50:51]
	v_mul_f64 v[10:11], v[10:11], v[48:49]
	v_mov_b32_e32 v31, s4
	v_add_co_u32_e32 v30, vcc, s5, v34
	v_addc_co_u32_e32 v31, vcc, v35, v31, vcc
	global_store_dwordx4 v[30:31], v[24:27], off
	v_mul_f64 v[4:5], v[28:29], s[0:1]
	v_mul_f64 v[6:7], v[6:7], s[0:1]
	v_fma_f64 v[26:27], v[8:9], v[48:49], v[32:33]
	v_fma_f64 v[8:9], v[8:9], v[50:51], -v[10:11]
	v_mul_f64 v[10:11], v[14:15], v[42:43]
	v_mul_f64 v[14:15], v[14:15], v[40:41]
	v_mov_b32_e32 v24, 0xffffc4f0
	v_mad_u64_u32 v[24:25], s[2:3], s8, v24, v[30:31]
	s_mul_i32 s2, s9, 0xffffc4f0
	s_sub_i32 s2, s2, s8
	v_add_u32_e32 v25, s2, v25
	global_store_dwordx4 v[24:25], v[4:7], off
	s_nop 0
	v_mul_f64 v[6:7], v[8:9], s[0:1]
	v_fma_f64 v[8:9], v[12:13], v[40:41], v[10:11]
	v_fma_f64 v[10:11], v[12:13], v[42:43], -v[14:15]
	v_mul_f64 v[14:15], v[18:19], v[2:3]
	v_mul_f64 v[18:19], v[18:19], v[0:1]
	;; [unrolled: 1-line block ×3, first 2 shown]
	v_mov_b32_e32 v26, s4
	v_add_co_u32_e32 v12, vcc, s5, v24
	v_addc_co_u32_e32 v13, vcc, v25, v26, vcc
	s_waitcnt lgkmcnt(0)
	v_mul_f64 v[24:25], v[22:23], v[54:55]
	v_mul_f64 v[22:23], v[22:23], v[52:53]
	v_fma_f64 v[0:1], v[16:17], v[0:1], v[14:15]
	v_fma_f64 v[2:3], v[16:17], v[2:3], -v[18:19]
	global_store_dwordx4 v[12:13], v[4:7], off
	v_add_co_u32_e32 v12, vcc, s5, v12
	v_mul_f64 v[4:5], v[8:9], s[0:1]
	v_mul_f64 v[6:7], v[10:11], s[0:1]
	v_fma_f64 v[8:9], v[20:21], v[52:53], v[24:25]
	v_fma_f64 v[10:11], v[20:21], v[54:55], -v[22:23]
	v_mul_f64 v[0:1], v[0:1], s[0:1]
	v_mul_f64 v[2:3], v[2:3], s[0:1]
	v_addc_co_u32_e32 v13, vcc, v13, v26, vcc
	v_mov_b32_e32 v14, s4
	global_store_dwordx4 v[12:13], v[4:7], off
	s_nop 0
	v_mul_f64 v[4:5], v[8:9], s[0:1]
	v_mul_f64 v[6:7], v[10:11], s[0:1]
	v_add_co_u32_e32 v8, vcc, s5, v12
	v_addc_co_u32_e32 v9, vcc, v13, v14, vcc
	global_store_dwordx4 v[8:9], v[0:3], off
	s_nop 0
	v_mov_b32_e32 v1, s4
	v_add_co_u32_e32 v0, vcc, s5, v8
	v_addc_co_u32_e32 v1, vcc, v9, v1, vcc
	global_store_dwordx4 v[0:1], v[4:7], off
.LBB0_26:
	s_endpgm
	.section	.rodata,"a",@progbits
	.p2align	6, 0x0
	.amdhsa_kernel bluestein_single_fwd_len1350_dim1_dp_op_CI_CI
		.amdhsa_group_segment_fixed_size 21600
		.amdhsa_private_segment_fixed_size 0
		.amdhsa_kernarg_size 104
		.amdhsa_user_sgpr_count 6
		.amdhsa_user_sgpr_private_segment_buffer 1
		.amdhsa_user_sgpr_dispatch_ptr 0
		.amdhsa_user_sgpr_queue_ptr 0
		.amdhsa_user_sgpr_kernarg_segment_ptr 1
		.amdhsa_user_sgpr_dispatch_id 0
		.amdhsa_user_sgpr_flat_scratch_init 0
		.amdhsa_user_sgpr_private_segment_size 0
		.amdhsa_uses_dynamic_stack 0
		.amdhsa_system_sgpr_private_segment_wavefront_offset 0
		.amdhsa_system_sgpr_workgroup_id_x 1
		.amdhsa_system_sgpr_workgroup_id_y 0
		.amdhsa_system_sgpr_workgroup_id_z 0
		.amdhsa_system_sgpr_workgroup_info 0
		.amdhsa_system_vgpr_workitem_id 0
		.amdhsa_next_free_vgpr 249
		.amdhsa_next_free_sgpr 22
		.amdhsa_reserve_vcc 1
		.amdhsa_reserve_flat_scratch 0
		.amdhsa_float_round_mode_32 0
		.amdhsa_float_round_mode_16_64 0
		.amdhsa_float_denorm_mode_32 3
		.amdhsa_float_denorm_mode_16_64 3
		.amdhsa_dx10_clamp 1
		.amdhsa_ieee_mode 1
		.amdhsa_fp16_overflow 0
		.amdhsa_exception_fp_ieee_invalid_op 0
		.amdhsa_exception_fp_denorm_src 0
		.amdhsa_exception_fp_ieee_div_zero 0
		.amdhsa_exception_fp_ieee_overflow 0
		.amdhsa_exception_fp_ieee_underflow 0
		.amdhsa_exception_fp_ieee_inexact 0
		.amdhsa_exception_int_div_zero 0
	.end_amdhsa_kernel
	.text
.Lfunc_end0:
	.size	bluestein_single_fwd_len1350_dim1_dp_op_CI_CI, .Lfunc_end0-bluestein_single_fwd_len1350_dim1_dp_op_CI_CI
                                        ; -- End function
	.section	.AMDGPU.csdata,"",@progbits
; Kernel info:
; codeLenInByte = 15180
; NumSgprs: 26
; NumVgprs: 249
; ScratchSize: 0
; MemoryBound: 0
; FloatMode: 240
; IeeeMode: 1
; LDSByteSize: 21600 bytes/workgroup (compile time only)
; SGPRBlocks: 3
; VGPRBlocks: 62
; NumSGPRsForWavesPerEU: 26
; NumVGPRsForWavesPerEU: 249
; Occupancy: 1
; WaveLimiterHint : 1
; COMPUTE_PGM_RSRC2:SCRATCH_EN: 0
; COMPUTE_PGM_RSRC2:USER_SGPR: 6
; COMPUTE_PGM_RSRC2:TRAP_HANDLER: 0
; COMPUTE_PGM_RSRC2:TGID_X_EN: 1
; COMPUTE_PGM_RSRC2:TGID_Y_EN: 0
; COMPUTE_PGM_RSRC2:TGID_Z_EN: 0
; COMPUTE_PGM_RSRC2:TIDIG_COMP_CNT: 0
	.type	__hip_cuid_1fa2afdd0aced2e1,@object ; @__hip_cuid_1fa2afdd0aced2e1
	.section	.bss,"aw",@nobits
	.globl	__hip_cuid_1fa2afdd0aced2e1
__hip_cuid_1fa2afdd0aced2e1:
	.byte	0                               ; 0x0
	.size	__hip_cuid_1fa2afdd0aced2e1, 1

	.ident	"AMD clang version 19.0.0git (https://github.com/RadeonOpenCompute/llvm-project roc-6.4.0 25133 c7fe45cf4b819c5991fe208aaa96edf142730f1d)"
	.section	".note.GNU-stack","",@progbits
	.addrsig
	.addrsig_sym __hip_cuid_1fa2afdd0aced2e1
	.amdgpu_metadata
---
amdhsa.kernels:
  - .args:
      - .actual_access:  read_only
        .address_space:  global
        .offset:         0
        .size:           8
        .value_kind:     global_buffer
      - .actual_access:  read_only
        .address_space:  global
        .offset:         8
        .size:           8
        .value_kind:     global_buffer
      - .actual_access:  read_only
        .address_space:  global
        .offset:         16
        .size:           8
        .value_kind:     global_buffer
      - .actual_access:  read_only
        .address_space:  global
        .offset:         24
        .size:           8
        .value_kind:     global_buffer
      - .actual_access:  read_only
        .address_space:  global
        .offset:         32
        .size:           8
        .value_kind:     global_buffer
      - .offset:         40
        .size:           8
        .value_kind:     by_value
      - .address_space:  global
        .offset:         48
        .size:           8
        .value_kind:     global_buffer
      - .address_space:  global
        .offset:         56
        .size:           8
        .value_kind:     global_buffer
      - .address_space:  global
        .offset:         64
        .size:           8
        .value_kind:     global_buffer
      - .address_space:  global
        .offset:         72
        .size:           8
        .value_kind:     global_buffer
      - .offset:         80
        .size:           4
        .value_kind:     by_value
      - .address_space:  global
        .offset:         88
        .size:           8
        .value_kind:     global_buffer
      - .address_space:  global
        .offset:         96
        .size:           8
        .value_kind:     global_buffer
    .group_segment_fixed_size: 21600
    .kernarg_segment_align: 8
    .kernarg_segment_size: 104
    .language:       OpenCL C
    .language_version:
      - 2
      - 0
    .max_flat_workgroup_size: 135
    .name:           bluestein_single_fwd_len1350_dim1_dp_op_CI_CI
    .private_segment_fixed_size: 0
    .sgpr_count:     26
    .sgpr_spill_count: 0
    .symbol:         bluestein_single_fwd_len1350_dim1_dp_op_CI_CI.kd
    .uniform_work_group_size: 1
    .uses_dynamic_stack: false
    .vgpr_count:     249
    .vgpr_spill_count: 0
    .wavefront_size: 64
amdhsa.target:   amdgcn-amd-amdhsa--gfx906
amdhsa.version:
  - 1
  - 2
...

	.end_amdgpu_metadata
